;; amdgpu-corpus repo=ROCm/rocFFT kind=compiled arch=gfx1030 opt=O3
	.text
	.amdgcn_target "amdgcn-amd-amdhsa--gfx1030"
	.amdhsa_code_object_version 6
	.protected	fft_rtc_back_len338_factors_13_2_13_wgs_52_tpt_26_halfLds_dp_ip_CI_unitstride_sbrr_R2C_dirReg ; -- Begin function fft_rtc_back_len338_factors_13_2_13_wgs_52_tpt_26_halfLds_dp_ip_CI_unitstride_sbrr_R2C_dirReg
	.globl	fft_rtc_back_len338_factors_13_2_13_wgs_52_tpt_26_halfLds_dp_ip_CI_unitstride_sbrr_R2C_dirReg
	.p2align	8
	.type	fft_rtc_back_len338_factors_13_2_13_wgs_52_tpt_26_halfLds_dp_ip_CI_unitstride_sbrr_R2C_dirReg,@function
fft_rtc_back_len338_factors_13_2_13_wgs_52_tpt_26_halfLds_dp_ip_CI_unitstride_sbrr_R2C_dirReg: ; @fft_rtc_back_len338_factors_13_2_13_wgs_52_tpt_26_halfLds_dp_ip_CI_unitstride_sbrr_R2C_dirReg
; %bb.0:
	s_clause 0x2
	s_load_dwordx4 s[8:11], s[4:5], 0x0
	s_load_dwordx2 s[2:3], s[4:5], 0x50
	s_load_dwordx2 s[12:13], s[4:5], 0x18
	v_mul_u32_u24_e32 v1, 0x9d9, v0
	v_mov_b32_e32 v3, 0
	v_lshrrev_b32_e32 v9, 16, v1
	v_mov_b32_e32 v1, 0
	v_mov_b32_e32 v6, v3
	v_mov_b32_e32 v2, 0
	v_lshl_add_u32 v5, s6, 1, v9
	s_waitcnt lgkmcnt(0)
	v_cmp_lt_u64_e64 s0, s[10:11], 2
	s_and_b32 vcc_lo, exec_lo, s0
	s_cbranch_vccnz .LBB0_8
; %bb.1:
	s_load_dwordx2 s[0:1], s[4:5], 0x10
	v_mov_b32_e32 v1, 0
	s_add_u32 s6, s12, 8
	v_mov_b32_e32 v2, 0
	s_addc_u32 s7, s13, 0
	s_mov_b64 s[16:17], 1
	s_waitcnt lgkmcnt(0)
	s_add_u32 s14, s0, 8
	s_addc_u32 s15, s1, 0
.LBB0_2:                                ; =>This Inner Loop Header: Depth=1
	s_load_dwordx2 s[18:19], s[14:15], 0x0
                                        ; implicit-def: $vgpr7_vgpr8
	s_mov_b32 s0, exec_lo
	s_waitcnt lgkmcnt(0)
	v_or_b32_e32 v4, s19, v6
	v_cmpx_ne_u64_e32 0, v[3:4]
	s_xor_b32 s1, exec_lo, s0
	s_cbranch_execz .LBB0_4
; %bb.3:                                ;   in Loop: Header=BB0_2 Depth=1
	v_cvt_f32_u32_e32 v4, s18
	v_cvt_f32_u32_e32 v7, s19
	s_sub_u32 s0, 0, s18
	s_subb_u32 s20, 0, s19
	v_fmac_f32_e32 v4, 0x4f800000, v7
	v_rcp_f32_e32 v4, v4
	v_mul_f32_e32 v4, 0x5f7ffffc, v4
	v_mul_f32_e32 v7, 0x2f800000, v4
	v_trunc_f32_e32 v7, v7
	v_fmac_f32_e32 v4, 0xcf800000, v7
	v_cvt_u32_f32_e32 v7, v7
	v_cvt_u32_f32_e32 v4, v4
	v_mul_lo_u32 v8, s0, v7
	v_mul_hi_u32 v10, s0, v4
	v_mul_lo_u32 v11, s20, v4
	v_add_nc_u32_e32 v8, v10, v8
	v_mul_lo_u32 v10, s0, v4
	v_add_nc_u32_e32 v8, v8, v11
	v_mul_hi_u32 v11, v4, v10
	v_mul_lo_u32 v12, v4, v8
	v_mul_hi_u32 v13, v4, v8
	v_mul_hi_u32 v14, v7, v10
	v_mul_lo_u32 v10, v7, v10
	v_mul_hi_u32 v15, v7, v8
	v_mul_lo_u32 v8, v7, v8
	v_add_co_u32 v11, vcc_lo, v11, v12
	v_add_co_ci_u32_e32 v12, vcc_lo, 0, v13, vcc_lo
	v_add_co_u32 v10, vcc_lo, v11, v10
	v_add_co_ci_u32_e32 v10, vcc_lo, v12, v14, vcc_lo
	v_add_co_ci_u32_e32 v11, vcc_lo, 0, v15, vcc_lo
	v_add_co_u32 v8, vcc_lo, v10, v8
	v_add_co_ci_u32_e32 v10, vcc_lo, 0, v11, vcc_lo
	v_add_co_u32 v4, vcc_lo, v4, v8
	v_add_co_ci_u32_e32 v7, vcc_lo, v7, v10, vcc_lo
	v_mul_hi_u32 v8, s0, v4
	v_mul_lo_u32 v11, s20, v4
	v_mul_lo_u32 v10, s0, v7
	v_add_nc_u32_e32 v8, v8, v10
	v_mul_lo_u32 v10, s0, v4
	v_add_nc_u32_e32 v8, v8, v11
	v_mul_hi_u32 v11, v4, v10
	v_mul_lo_u32 v12, v4, v8
	v_mul_hi_u32 v13, v4, v8
	v_mul_hi_u32 v14, v7, v10
	v_mul_lo_u32 v10, v7, v10
	v_mul_hi_u32 v15, v7, v8
	v_mul_lo_u32 v8, v7, v8
	v_add_co_u32 v11, vcc_lo, v11, v12
	v_add_co_ci_u32_e32 v12, vcc_lo, 0, v13, vcc_lo
	v_add_co_u32 v10, vcc_lo, v11, v10
	v_add_co_ci_u32_e32 v10, vcc_lo, v12, v14, vcc_lo
	v_add_co_ci_u32_e32 v11, vcc_lo, 0, v15, vcc_lo
	v_add_co_u32 v8, vcc_lo, v10, v8
	v_add_co_ci_u32_e32 v10, vcc_lo, 0, v11, vcc_lo
	v_add_co_u32 v4, vcc_lo, v4, v8
	v_add_co_ci_u32_e32 v12, vcc_lo, v7, v10, vcc_lo
	v_mul_hi_u32 v14, v5, v4
	v_mad_u64_u32 v[10:11], null, v6, v4, 0
	v_mad_u64_u32 v[7:8], null, v5, v12, 0
	;; [unrolled: 1-line block ×3, first 2 shown]
	v_add_co_u32 v4, vcc_lo, v14, v7
	v_add_co_ci_u32_e32 v7, vcc_lo, 0, v8, vcc_lo
	v_add_co_u32 v4, vcc_lo, v4, v10
	v_add_co_ci_u32_e32 v4, vcc_lo, v7, v11, vcc_lo
	v_add_co_ci_u32_e32 v7, vcc_lo, 0, v13, vcc_lo
	v_add_co_u32 v4, vcc_lo, v4, v12
	v_add_co_ci_u32_e32 v10, vcc_lo, 0, v7, vcc_lo
	v_mul_lo_u32 v11, s19, v4
	v_mad_u64_u32 v[7:8], null, s18, v4, 0
	v_mul_lo_u32 v12, s18, v10
	v_sub_co_u32 v7, vcc_lo, v5, v7
	v_add3_u32 v8, v8, v12, v11
	v_sub_nc_u32_e32 v11, v6, v8
	v_subrev_co_ci_u32_e64 v11, s0, s19, v11, vcc_lo
	v_add_co_u32 v12, s0, v4, 2
	v_add_co_ci_u32_e64 v13, s0, 0, v10, s0
	v_sub_co_u32 v14, s0, v7, s18
	v_sub_co_ci_u32_e32 v8, vcc_lo, v6, v8, vcc_lo
	v_subrev_co_ci_u32_e64 v11, s0, 0, v11, s0
	v_cmp_le_u32_e32 vcc_lo, s18, v14
	v_cmp_eq_u32_e64 s0, s19, v8
	v_cndmask_b32_e64 v14, 0, -1, vcc_lo
	v_cmp_le_u32_e32 vcc_lo, s19, v11
	v_cndmask_b32_e64 v15, 0, -1, vcc_lo
	v_cmp_le_u32_e32 vcc_lo, s18, v7
	;; [unrolled: 2-line block ×3, first 2 shown]
	v_cndmask_b32_e64 v16, 0, -1, vcc_lo
	v_cmp_eq_u32_e32 vcc_lo, s19, v11
	v_cndmask_b32_e64 v7, v16, v7, s0
	v_cndmask_b32_e32 v11, v15, v14, vcc_lo
	v_add_co_u32 v14, vcc_lo, v4, 1
	v_add_co_ci_u32_e32 v15, vcc_lo, 0, v10, vcc_lo
	v_cmp_ne_u32_e32 vcc_lo, 0, v11
	v_cndmask_b32_e32 v8, v15, v13, vcc_lo
	v_cndmask_b32_e32 v11, v14, v12, vcc_lo
	v_cmp_ne_u32_e32 vcc_lo, 0, v7
	v_cndmask_b32_e32 v8, v10, v8, vcc_lo
	v_cndmask_b32_e32 v7, v4, v11, vcc_lo
.LBB0_4:                                ;   in Loop: Header=BB0_2 Depth=1
	s_andn2_saveexec_b32 s0, s1
	s_cbranch_execz .LBB0_6
; %bb.5:                                ;   in Loop: Header=BB0_2 Depth=1
	v_cvt_f32_u32_e32 v4, s18
	s_sub_i32 s1, 0, s18
	v_rcp_iflag_f32_e32 v4, v4
	v_mul_f32_e32 v4, 0x4f7ffffe, v4
	v_cvt_u32_f32_e32 v4, v4
	v_mul_lo_u32 v7, s1, v4
	v_mul_hi_u32 v7, v4, v7
	v_add_nc_u32_e32 v4, v4, v7
	v_mul_hi_u32 v4, v5, v4
	v_mul_lo_u32 v7, v4, s18
	v_add_nc_u32_e32 v8, 1, v4
	v_sub_nc_u32_e32 v7, v5, v7
	v_subrev_nc_u32_e32 v10, s18, v7
	v_cmp_le_u32_e32 vcc_lo, s18, v7
	v_cndmask_b32_e32 v7, v7, v10, vcc_lo
	v_cndmask_b32_e32 v4, v4, v8, vcc_lo
	v_cmp_le_u32_e32 vcc_lo, s18, v7
	v_add_nc_u32_e32 v8, 1, v4
	v_cndmask_b32_e32 v7, v4, v8, vcc_lo
	v_mov_b32_e32 v8, v3
.LBB0_6:                                ;   in Loop: Header=BB0_2 Depth=1
	s_or_b32 exec_lo, exec_lo, s0
	s_load_dwordx2 s[0:1], s[6:7], 0x0
	v_mul_lo_u32 v4, v8, s18
	v_mul_lo_u32 v12, v7, s19
	v_mad_u64_u32 v[10:11], null, v7, s18, 0
	s_add_u32 s16, s16, 1
	s_addc_u32 s17, s17, 0
	s_add_u32 s6, s6, 8
	s_addc_u32 s7, s7, 0
	;; [unrolled: 2-line block ×3, first 2 shown]
	v_add3_u32 v4, v11, v12, v4
	v_sub_co_u32 v5, vcc_lo, v5, v10
	v_sub_co_ci_u32_e32 v4, vcc_lo, v6, v4, vcc_lo
	s_waitcnt lgkmcnt(0)
	v_mul_lo_u32 v6, s1, v5
	v_mul_lo_u32 v4, s0, v4
	v_mad_u64_u32 v[1:2], null, s0, v5, v[1:2]
	v_cmp_ge_u64_e64 s0, s[16:17], s[10:11]
	s_and_b32 vcc_lo, exec_lo, s0
	v_add3_u32 v2, v6, v2, v4
	s_cbranch_vccnz .LBB0_9
; %bb.7:                                ;   in Loop: Header=BB0_2 Depth=1
	v_mov_b32_e32 v5, v7
	v_mov_b32_e32 v6, v8
	s_branch .LBB0_2
.LBB0_8:
	v_mov_b32_e32 v8, v6
	v_mov_b32_e32 v7, v5
.LBB0_9:
	s_lshl_b64 s[0:1], s[10:11], 3
	v_mul_hi_u32 v3, 0x9d89d8a, v0
	s_add_u32 s0, s12, s0
	s_addc_u32 s1, s13, s1
	s_load_dwordx2 s[4:5], s[4:5], 0x20
	s_load_dwordx2 s[6:7], s[0:1], 0x0
	v_and_b32_e32 v4, 1, v9
	v_mul_u32_u24_e32 v3, 26, v3
	v_cmp_eq_u32_e64 s0, 1, v4
	v_sub_nc_u32_e32 v56, v0, v3
	v_add_nc_u32_e32 v61, 26, v56
	v_add_nc_u32_e32 v66, 52, v56
	;; [unrolled: 1-line block ×5, first 2 shown]
	s_waitcnt lgkmcnt(0)
	v_cmp_gt_u64_e32 vcc_lo, s[4:5], v[7:8]
	v_mul_lo_u32 v3, s6, v8
	v_mul_lo_u32 v4, s7, v7
	v_mad_u64_u32 v[0:1], null, s6, v7, v[1:2]
	v_cmp_le_u64_e64 s1, s[4:5], v[7:8]
	v_add_nc_u32_e32 v60, 0x9c, v56
	v_add3_u32 v1, v4, v1, v3
	s_and_saveexec_b32 s4, s1
	s_xor_b32 s1, exec_lo, s4
; %bb.10:
	v_add_nc_u32_e32 v61, 26, v56
	v_add_nc_u32_e32 v66, 52, v56
	;; [unrolled: 1-line block ×6, first 2 shown]
; %bb.11:
	s_or_saveexec_b32 s1, s1
	v_cndmask_b32_e64 v2, 0, 0x153, s0
	v_lshlrev_b64 v[58:59], 4, v[0:1]
	v_lshlrev_b32_e32 v62, 4, v56
	v_lshlrev_b32_e32 v83, 4, v2
	s_xor_b32 exec_lo, exec_lo, s1
	s_cbranch_execz .LBB0_13
; %bb.12:
	v_mov_b32_e32 v57, 0
	v_add_co_u32 v2, s0, s2, v58
	v_add_co_ci_u32_e64 v3, s0, s3, v59, s0
	v_lshlrev_b64 v[0:1], 4, v[56:57]
	v_add3_u32 v52, 0, v83, v62
	v_add_co_u32 v24, s0, v2, v0
	v_add_co_ci_u32_e64 v25, s0, v3, v1, s0
	v_add_co_u32 v36, s0, 0x800, v24
	v_add_co_ci_u32_e64 v37, s0, 0, v25, s0
	;; [unrolled: 2-line block ×3, first 2 shown]
	s_clause 0xc
	global_load_dwordx4 v[0:3], v[24:25], off
	global_load_dwordx4 v[4:7], v[24:25], off offset:416
	global_load_dwordx4 v[8:11], v[24:25], off offset:832
	global_load_dwordx4 v[12:15], v[24:25], off offset:1248
	global_load_dwordx4 v[16:19], v[24:25], off offset:1664
	global_load_dwordx4 v[20:23], v[36:37], off offset:32
	global_load_dwordx4 v[24:27], v[36:37], off offset:448
	global_load_dwordx4 v[28:31], v[36:37], off offset:864
	global_load_dwordx4 v[32:35], v[36:37], off offset:1280
	global_load_dwordx4 v[36:39], v[36:37], off offset:1696
	global_load_dwordx4 v[40:43], v[48:49], off offset:64
	global_load_dwordx4 v[44:47], v[48:49], off offset:480
	global_load_dwordx4 v[48:51], v[48:49], off offset:896
	s_waitcnt vmcnt(12)
	ds_write_b128 v52, v[0:3]
	s_waitcnt vmcnt(11)
	ds_write_b128 v52, v[4:7] offset:416
	s_waitcnt vmcnt(10)
	ds_write_b128 v52, v[8:11] offset:832
	;; [unrolled: 2-line block ×12, first 2 shown]
.LBB0_13:
	s_or_b32 exec_lo, exec_lo, s1
	v_add_nc_u32_e32 v140, 0, v83
	v_add3_u32 v57, 0, v62, v83
	s_waitcnt lgkmcnt(0)
	s_barrier
	buffer_gl0_inv
	v_add_nc_u32_e32 v139, v140, v62
	s_mov_b32 s22, 0x4267c47c
	s_mov_b32 s28, 0xe00740e9
	;; [unrolled: 1-line block ×3, first 2 shown]
	ds_read_b128 v[4:7], v57 offset:416
	ds_read_b128 v[0:3], v139
	ds_read_b128 v[12:15], v57 offset:832
	ds_read_b128 v[16:19], v57 offset:1248
	;; [unrolled: 1-line block ×3, first 2 shown]
	s_mov_b32 s29, 0x3fec55a7
	s_mov_b32 s10, 0x42a4c3d2
	;; [unrolled: 1-line block ×17, first 2 shown]
	s_waitcnt lgkmcnt(3)
	v_add_f64 v[8:9], v[0:1], v[4:5]
	v_add_f64 v[10:11], v[2:3], v[6:7]
	s_mov_b32 s17, 0xbfe5384d
	s_mov_b32 s1, 0xbfcea1e5
	;; [unrolled: 1-line block ×16, first 2 shown]
	s_waitcnt lgkmcnt(2)
	v_add_f64 v[8:9], v[8:9], v[12:13]
	v_add_f64 v[10:11], v[10:11], v[14:15]
	s_waitcnt lgkmcnt(1)
	v_add_f64 v[28:29], v[8:9], v[16:17]
	v_add_f64 v[30:31], v[10:11], v[18:19]
	ds_read_b128 v[8:11], v57 offset:4992
	ds_read_b128 v[84:87], v57 offset:3328
	;; [unrolled: 1-line block ×8, first 2 shown]
	s_waitcnt lgkmcnt(0)
	s_barrier
	buffer_gl0_inv
	v_add_f64 v[48:49], v[6:7], -v[10:11]
	v_add_f64 v[67:68], v[6:7], v[10:11]
	v_add_f64 v[28:29], v[28:29], v[24:25]
	;; [unrolled: 1-line block ×4, first 2 shown]
	v_add_f64 v[81:82], v[14:15], -v[22:23]
	v_add_f64 v[100:101], v[4:5], v[8:9]
	v_add_f64 v[102:103], v[4:5], -v[8:9]
	v_add_f64 v[38:39], v[26:27], v[90:91]
	v_add_f64 v[40:41], v[26:27], -v[90:91]
	v_add_f64 v[34:35], v[44:45], v[86:87]
	v_add_f64 v[4:5], v[52:53], v[92:93]
	v_add_f64 v[26:27], v[54:55], v[94:95]
	v_add_f64 v[6:7], v[52:53], -v[92:93]
	v_add_f64 v[50:51], v[18:19], -v[98:99]
	v_add_f64 v[46:47], v[18:19], v[98:99]
	v_add_f64 v[32:33], v[24:25], v[88:89]
	v_add_f64 v[30:31], v[24:25], -v[88:89]
	v_add_f64 v[24:25], v[42:43], v[84:85]
	v_add_f64 v[14:15], v[42:43], -v[84:85]
	;; [unrolled: 2-line block ×3, first 2 shown]
	v_mul_f64 v[104:105], v[48:49], s[22:23]
	v_mul_f64 v[106:107], v[67:68], s[28:29]
	v_add_f64 v[69:70], v[28:29], v[42:43]
	v_add_f64 v[71:72], v[36:37], v[44:45]
	v_add_f64 v[36:37], v[44:45], -v[86:87]
	v_add_f64 v[28:29], v[54:55], -v[94:95]
	v_add_f64 v[44:45], v[12:13], v[20:21]
	v_add_f64 v[12:13], v[12:13], -v[20:21]
	v_mul_f64 v[108:109], v[48:49], s[10:11]
	v_mul_f64 v[112:113], v[48:49], s[4:5]
	;; [unrolled: 1-line block ×14, first 2 shown]
	v_fma_f64 v[143:144], v[100:101], s[28:29], v[104:105]
	v_fma_f64 v[147:148], v[102:103], s[36:37], v[106:107]
	v_add_f64 v[116:117], v[69:70], v[52:53]
	v_add_f64 v[118:119], v[71:72], v[54:55]
	v_mul_f64 v[69:70], v[46:47], s[12:13]
	v_mul_f64 v[134:135], v[79:80], s[18:19]
	;; [unrolled: 1-line block ×4, first 2 shown]
	v_fma_f64 v[165:166], v[100:101], s[20:21], v[108:109]
	v_fma_f64 v[108:109], v[100:101], s[20:21], -v[108:109]
	v_fma_f64 v[169:170], v[100:101], s[18:19], v[112:113]
	v_fma_f64 v[171:172], v[44:45], s[20:21], v[77:78]
	;; [unrolled: 1-line block ×4, first 2 shown]
	v_fma_f64 v[104:105], v[100:101], s[28:29], -v[104:105]
	v_fma_f64 v[167:168], v[100:101], s[12:13], v[110:111]
	v_fma_f64 v[110:111], v[100:101], s[12:13], -v[110:111]
	v_fma_f64 v[106:107], v[102:103], s[22:23], v[106:107]
	v_fma_f64 v[175:176], v[100:101], s[14:15], v[120:121]
	;; [unrolled: 1-line block ×6, first 2 shown]
	v_add_f64 v[147:148], v[2:3], v[147:148]
	v_add_f64 v[92:93], v[116:117], v[92:93]
	;; [unrolled: 1-line block ×3, first 2 shown]
	v_fma_f64 v[181:182], v[102:103], s[40:41], v[130:131]
	v_mul_f64 v[48:49], v[40:41], s[4:5]
	v_mul_f64 v[42:43], v[38:39], s[18:19]
	;; [unrolled: 1-line block ×4, first 2 shown]
	v_add_f64 v[165:166], v[0:1], v[165:166]
	v_add_f64 v[108:109], v[0:1], v[108:109]
	v_mul_f64 v[149:150], v[46:47], s[18:19]
	v_add_f64 v[173:174], v[2:3], v[173:174]
	v_add_f64 v[122:123], v[2:3], v[122:123]
	;; [unrolled: 1-line block ×14, first 2 shown]
	v_fma_f64 v[92:93], v[12:13], s[30:31], v[75:76]
	v_fma_f64 v[94:95], v[100:101], s[18:19], -v[112:113]
	v_add_f64 v[112:113], v[0:1], v[143:144]
	v_fma_f64 v[143:144], v[100:101], s[24:25], v[114:115]
	v_fma_f64 v[114:115], v[100:101], s[24:25], -v[114:115]
	v_fma_f64 v[100:101], v[100:101], s[14:15], -v[120:121]
	v_fma_f64 v[120:121], v[102:103], s[26:27], v[124:125]
	v_fma_f64 v[124:125], v[102:103], s[6:7], v[124:125]
	;; [unrolled: 1-line block ×3, first 2 shown]
	v_add_f64 v[181:182], v[2:3], v[181:182]
	v_mul_f64 v[52:53], v[36:37], s[16:17]
	v_mul_f64 v[73:74], v[34:35], s[24:25]
	;; [unrolled: 1-line block ×10, first 2 shown]
	v_add_f64 v[84:85], v[84:85], v[88:89]
	v_add_f64 v[86:87], v[86:87], v[90:91]
	v_fma_f64 v[88:89], v[18:19], s[12:13], v[67:68]
	v_fma_f64 v[90:91], v[16:17], s[26:27], v[69:70]
	v_add_f64 v[112:113], v[171:172], v[112:113]
	v_fma_f64 v[171:172], v[44:45], s[18:19], v[132:133]
	v_add_f64 v[92:93], v[92:93], v[147:148]
	v_fma_f64 v[147:148], v[12:13], s[34:35], v[134:135]
	v_fma_f64 v[132:133], v[44:45], s[18:19], -v[132:133]
	v_fma_f64 v[134:135], v[12:13], s[4:5], v[134:135]
	v_add_f64 v[120:121], v[2:3], v[120:121]
	v_add_f64 v[124:125], v[2:3], v[124:125]
	;; [unrolled: 1-line block ×7, first 2 shown]
	v_fma_f64 v[100:101], v[44:45], s[14:15], v[136:137]
	v_fma_f64 v[102:103], v[12:13], s[40:41], v[141:142]
	v_fma_f64 v[136:137], v[44:45], s[14:15], -v[136:137]
	v_fma_f64 v[141:142], v[12:13], s[0:1], v[141:142]
	v_mul_f64 v[163:164], v[36:37], s[10:11]
	v_add_f64 v[84:85], v[84:85], v[96:97]
	v_add_f64 v[86:87], v[86:87], v[98:99]
	v_mul_f64 v[96:97], v[50:51], s[36:37]
	v_fma_f64 v[98:99], v[18:19], s[18:19], v[145:146]
	v_add_f64 v[88:89], v[88:89], v[112:113]
	v_add_f64 v[165:166], v[171:172], v[165:166]
	v_mul_f64 v[171:172], v[81:82], s[38:39]
	v_fma_f64 v[112:113], v[32:33], s[18:19], v[48:49]
	v_add_f64 v[90:91], v[90:91], v[92:93]
	v_fma_f64 v[92:93], v[30:31], s[34:35], v[42:43]
	v_add_f64 v[147:148], v[147:148], v[173:174]
	;; [unrolled: 2-line block ×4, first 2 shown]
	v_mul_f64 v[134:135], v[79:80], s[24:25]
	v_fma_f64 v[116:117], v[18:19], s[14:15], -v[116:117]
	v_fma_f64 v[118:119], v[16:17], s[0:1], v[118:119]
	v_add_f64 v[100:101], v[100:101], v[167:168]
	v_fma_f64 v[167:168], v[16:17], s[4:5], v[149:150]
	v_add_f64 v[102:103], v[102:103], v[120:121]
	v_mul_f64 v[120:121], v[46:47], s[28:29]
	v_add_f64 v[110:111], v[136:137], v[110:111]
	v_fma_f64 v[136:137], v[24:25], s[24:25], v[52:53]
	v_fma_f64 v[145:146], v[18:19], s[18:19], -v[145:146]
	v_add_f64 v[124:125], v[141:142], v[124:125]
	v_mul_f64 v[141:142], v[38:39], s[12:13]
	v_fma_f64 v[149:150], v[16:17], s[34:35], v[149:150]
	v_add_f64 v[84:85], v[84:85], v[20:21]
	v_add_f64 v[88:89], v[112:113], v[88:89]
	v_fma_f64 v[112:113], v[14:15], s[38:39], v[73:74]
	v_add_f64 v[90:91], v[92:93], v[90:91]
	v_mul_f64 v[92:93], v[40:41], s[6:7]
	v_add_f64 v[165:166], v[173:174], v[165:166]
	v_fma_f64 v[173:174], v[4:5], s[14:15], v[54:55]
	v_add_f64 v[132:133], v[132:133], v[147:148]
	v_fma_f64 v[147:148], v[6:7], s[40:41], v[71:72]
	v_add_f64 v[86:87], v[86:87], v[22:23]
	v_add_f64 v[108:109], v[116:117], v[108:109]
	v_fma_f64 v[116:117], v[44:45], s[24:25], v[171:172]
	v_add_f64 v[118:119], v[118:119], v[122:123]
	v_fma_f64 v[122:123], v[12:13], s[16:17], v[134:135]
	;; [unrolled: 2-line block ×4, first 2 shown]
	v_mul_f64 v[183:184], v[81:82], s[26:27]
	v_fma_f64 v[171:172], v[44:45], s[24:25], -v[171:172]
	v_fma_f64 v[185:186], v[18:19], s[28:29], v[96:97]
	v_fma_f64 v[134:135], v[12:13], s[38:39], v[134:135]
	v_mul_f64 v[130:131], v[34:35], s[20:21]
	v_add_f64 v[88:89], v[136:137], v[88:89]
	v_fma_f64 v[136:137], v[32:33], s[28:29], v[155:156]
	v_add_f64 v[90:91], v[112:113], v[90:91]
	v_fma_f64 v[112:113], v[30:31], s[22:23], v[157:158]
	v_fma_f64 v[100:101], v[32:33], s[24:25], v[151:152]
	v_fma_f64 v[151:152], v[32:33], s[24:25], -v[151:152]
	v_fma_f64 v[155:156], v[32:33], s[28:29], -v[155:156]
	v_add_f64 v[110:111], v[145:146], v[110:111]
	v_fma_f64 v[145:146], v[14:15], s[6:7], v[161:162]
	v_fma_f64 v[157:158], v[30:31], s[36:37], v[157:158]
	v_add_f64 v[116:117], v[116:117], v[169:170]
	v_fma_f64 v[169:170], v[16:17], s[22:23], v[120:121]
	v_add_f64 v[122:123], v[122:123], v[177:178]
	v_add_f64 v[124:125], v[149:150], v[124:125]
	;; [unrolled: 1-line block ×6, first 2 shown]
	v_fma_f64 v[84:85], v[14:15], s[26:27], v[161:162]
	v_add_f64 v[86:87], v[171:172], v[94:95]
	v_add_f64 v[126:127], v[134:135], v[126:127]
	v_fma_f64 v[120:121], v[16:17], s[36:37], v[120:121]
	v_add_f64 v[20:21], v[173:174], v[88:89]
	v_add_f64 v[98:99], v[136:137], v[98:99]
	;; [unrolled: 1-line block ×4, first 2 shown]
	v_fma_f64 v[88:89], v[18:19], s[28:29], -v[96:97]
	v_fma_f64 v[90:91], v[24:25], s[20:21], v[163:164]
	v_fma_f64 v[112:113], v[32:33], s[12:13], v[92:93]
	v_mul_f64 v[136:137], v[34:35], s[14:15]
	v_mul_f64 v[134:135], v[79:80], s[12:13]
	v_fma_f64 v[147:148], v[44:45], s[12:13], v[183:184]
	v_add_f64 v[94:95], v[185:186], v[116:117]
	v_fma_f64 v[116:117], v[30:31], s[26:27], v[141:142]
	v_add_f64 v[96:97], v[169:170], v[122:123]
	v_mul_f64 v[122:123], v[36:37], s[40:41]
	v_mul_f64 v[149:150], v[50:51], s[10:11]
	v_add_f64 v[108:109], v[151:152], v[108:109]
	v_add_f64 v[110:111], v[155:156], v[110:111]
	;; [unrolled: 1-line block ×3, first 2 shown]
	v_fma_f64 v[145:146], v[14:15], s[30:31], v[130:131]
	v_mul_f64 v[81:82], v[81:82], s[36:37]
	v_fma_f64 v[151:152], v[24:25], s[20:21], -v[163:164]
	v_mul_f64 v[79:80], v[79:80], s[28:29]
	v_add_f64 v[124:125], v[157:158], v[124:125]
	v_add_f64 v[84:85], v[84:85], v[118:119]
	v_fma_f64 v[118:119], v[30:31], s[6:7], v[141:142]
	v_mul_f64 v[141:142], v[46:47], s[20:21]
	v_add_f64 v[86:87], v[88:89], v[86:87]
	v_fma_f64 v[88:89], v[32:33], s[12:13], -v[92:93]
	v_add_f64 v[90:91], v[90:91], v[98:99]
	v_fma_f64 v[92:93], v[14:15], s[10:11], v[130:131]
	v_mul_f64 v[50:51], v[50:51], s[16:17]
	v_mul_f64 v[46:47], v[46:47], s[24:25]
	v_add_f64 v[94:95], v[112:113], v[94:95]
	v_fma_f64 v[112:113], v[14:15], s[0:1], v[136:137]
	v_add_f64 v[96:97], v[116:117], v[96:97]
	v_fma_f64 v[98:99], v[24:25], s[14:15], v[122:123]
	;; [unrolled: 2-line block ×4, first 2 shown]
	v_fma_f64 v[143:144], v[44:45], s[12:13], -v[183:184]
	v_fma_f64 v[134:135], v[12:13], s[26:27], v[134:135]
	v_mul_f64 v[147:148], v[40:41], s[40:41]
	v_add_f64 v[102:103], v[145:146], v[102:103]
	v_fma_f64 v[145:146], v[44:45], s[28:29], v[81:82]
	v_add_f64 v[110:111], v[151:152], v[110:111]
	v_fma_f64 v[151:152], v[12:13], s[22:23], v[79:80]
	v_fma_f64 v[81:82], v[44:45], s[28:29], -v[81:82]
	v_fma_f64 v[79:80], v[12:13], s[36:37], v[79:80]
	v_fma_f64 v[44:45], v[44:45], s[20:21], -v[77:78]
	v_fma_f64 v[12:13], v[12:13], s[10:11], v[75:76]
	v_add_f64 v[92:93], v[92:93], v[124:125]
	v_fma_f64 v[124:125], v[16:17], s[10:11], v[141:142]
	v_add_f64 v[86:87], v[88:89], v[86:87]
	v_fma_f64 v[88:89], v[24:25], s[14:15], -v[122:123]
	v_mul_f64 v[40:41], v[40:41], s[30:31]
	v_mul_f64 v[159:160], v[36:37], s[26:27]
	v_add_f64 v[77:78], v[98:99], v[94:95]
	v_add_f64 v[94:95], v[112:113], v[96:97]
	;; [unrolled: 1-line block ×5, first 2 shown]
	v_fma_f64 v[112:113], v[16:17], s[30:31], v[141:142]
	v_add_f64 v[114:115], v[143:144], v[114:115]
	v_add_f64 v[118:119], v[134:135], v[128:129]
	v_fma_f64 v[120:121], v[18:19], s[20:21], -v[149:150]
	v_mul_f64 v[130:131], v[38:39], s[14:15]
	v_fma_f64 v[116:117], v[32:33], s[14:15], v[147:148]
	v_add_f64 v[122:123], v[145:146], v[175:176]
	v_add_f64 v[126:127], v[151:152], v[181:182]
	v_fma_f64 v[128:129], v[18:19], s[24:25], v[50:51]
	v_fma_f64 v[134:135], v[16:17], s[38:39], v[46:47]
	v_add_f64 v[0:1], v[81:82], v[0:1]
	v_add_f64 v[2:3], v[79:80], v[2:3]
	v_fma_f64 v[50:51], v[18:19], s[24:25], -v[50:51]
	v_add_f64 v[44:45], v[44:45], v[104:105]
	v_fma_f64 v[46:47], v[16:17], s[16:17], v[46:47]
	v_fma_f64 v[18:19], v[18:19], s[12:13], -v[67:68]
	v_mul_f64 v[38:39], v[38:39], s[20:21]
	v_add_f64 v[12:13], v[12:13], v[106:107]
	v_fma_f64 v[16:17], v[16:17], s[6:7], v[69:70]
	v_fma_f64 v[177:178], v[24:25], s[12:13], v[159:160]
	v_add_f64 v[100:101], v[100:101], v[165:166]
	v_mul_f64 v[67:68], v[28:29], s[36:37]
	v_add_f64 v[69:70], v[112:113], v[98:99]
	v_mul_f64 v[79:80], v[26:27], s[28:29]
	v_add_f64 v[98:99], v[124:125], v[118:119]
	v_add_f64 v[81:82], v[120:121], v[114:115]
	v_fma_f64 v[118:119], v[32:33], s[14:15], -v[147:148]
	v_fma_f64 v[120:121], v[30:31], s[40:41], v[130:131]
	v_add_f64 v[75:76], v[116:117], v[75:76]
	v_fma_f64 v[112:113], v[30:31], s[0:1], v[130:131]
	v_add_f64 v[106:107], v[128:129], v[122:123]
	v_add_f64 v[114:115], v[134:135], v[126:127]
	v_mul_f64 v[116:117], v[36:37], s[36:37]
	v_mul_f64 v[36:37], v[36:37], s[4:5]
	v_add_f64 v[0:1], v[50:51], v[0:1]
	v_mul_f64 v[50:51], v[34:35], s[28:29]
	v_add_f64 v[2:3], v[46:47], v[2:3]
	v_fma_f64 v[46:47], v[32:33], s[20:21], v[40:41]
	v_add_f64 v[18:19], v[18:19], v[44:45]
	v_fma_f64 v[44:45], v[30:31], s[10:11], v[38:39]
	v_fma_f64 v[40:41], v[32:33], s[20:21], -v[40:41]
	v_fma_f64 v[38:39], v[30:31], s[30:31], v[38:39]
	v_add_f64 v[12:13], v[16:17], v[12:13]
	v_fma_f64 v[32:33], v[32:33], s[18:19], -v[48:49]
	v_fma_f64 v[30:31], v[30:31], s[4:5], v[42:43]
	v_mul_f64 v[34:35], v[34:35], s[18:19]
	v_add_f64 v[86:87], v[88:89], v[86:87]
	v_mul_f64 v[88:89], v[28:29], s[16:17]
	v_mul_f64 v[104:105], v[26:27], s[24:25]
	v_add_f64 v[81:82], v[118:119], v[81:82]
	v_mul_f64 v[118:119], v[28:29], s[30:31]
	v_add_f64 v[98:99], v[120:121], v[98:99]
	;; [unrolled: 2-line block ×3, first 2 shown]
	v_fma_f64 v[122:123], v[14:15], s[40:41], v[136:137]
	v_fma_f64 v[159:160], v[24:25], s[12:13], -v[159:160]
	v_add_f64 v[100:101], v[177:178], v[100:101]
	v_fma_f64 v[16:17], v[4:5], s[28:29], v[67:68]
	v_fma_f64 v[48:49], v[6:7], s[22:23], v[79:80]
	v_add_f64 v[46:47], v[46:47], v[106:107]
	v_fma_f64 v[106:107], v[24:25], s[28:29], v[116:117]
	v_add_f64 v[44:45], v[44:45], v[114:115]
	;; [unrolled: 2-line block ×3, first 2 shown]
	v_mul_f64 v[40:41], v[28:29], s[4:5]
	v_add_f64 v[2:3], v[38:39], v[2:3]
	v_mul_f64 v[38:39], v[26:27], s[18:19]
	v_fma_f64 v[116:117], v[24:25], s[28:29], -v[116:117]
	v_fma_f64 v[50:51], v[14:15], s[36:37], v[50:51]
	v_add_f64 v[18:19], v[32:33], v[18:19]
	v_fma_f64 v[32:33], v[24:25], s[18:19], v[36:37]
	v_add_f64 v[12:13], v[30:31], v[12:13]
	v_fma_f64 v[30:31], v[14:15], s[34:35], v[34:35]
	v_mul_f64 v[28:29], v[28:29], s[26:27]
	v_mul_f64 v[26:27], v[26:27], s[12:13]
	v_fma_f64 v[36:37], v[24:25], s[18:19], -v[36:37]
	v_fma_f64 v[34:35], v[14:15], s[4:5], v[34:35]
	v_fma_f64 v[24:25], v[24:25], s[24:25], -v[52:53]
	v_fma_f64 v[14:15], v[14:15], s[16:17], v[73:74]
	v_fma_f64 v[42:43], v[4:5], s[24:25], v[88:89]
	;; [unrolled: 1-line block ×5, first 2 shown]
	v_add_f64 v[75:76], v[106:107], v[75:76]
	v_add_f64 v[69:70], v[114:115], v[69:70]
	;; [unrolled: 1-line block ×3, first 2 shown]
	v_fma_f64 v[106:107], v[4:5], s[18:19], v[40:41]
	v_fma_f64 v[40:41], v[4:5], s[18:19], -v[40:41]
	v_fma_f64 v[114:115], v[6:7], s[34:35], v[38:39]
	v_add_f64 v[81:82], v[116:117], v[81:82]
	v_add_f64 v[98:99], v[50:51], v[98:99]
	v_fma_f64 v[122:123], v[6:7], s[4:5], v[38:39]
	v_add_f64 v[46:47], v[32:33], v[46:47]
	v_fma_f64 v[118:119], v[4:5], s[20:21], -v[118:119]
	v_add_f64 v[50:51], v[30:31], v[44:45]
	v_fma_f64 v[44:45], v[4:5], s[12:13], v[28:29]
	v_fma_f64 v[116:117], v[6:7], s[6:7], v[26:27]
	v_add_f64 v[0:1], v[36:37], v[0:1]
	v_add_f64 v[2:3], v[34:35], v[2:3]
	v_fma_f64 v[34:35], v[4:5], s[12:13], -v[28:29]
	v_fma_f64 v[26:27], v[6:7], s[26:27], v[26:27]
	v_fma_f64 v[120:121], v[6:7], s[30:31], v[120:121]
	v_fma_f64 v[88:89], v[4:5], s[24:25], -v[88:89]
	v_fma_f64 v[104:105], v[6:7], s[16:17], v[104:105]
	v_add_f64 v[108:109], v[159:160], v[108:109]
	v_fma_f64 v[67:68], v[4:5], s[28:29], -v[67:68]
	v_fma_f64 v[79:80], v[6:7], s[36:37], v[79:80]
	v_add_f64 v[124:125], v[24:25], v[18:19]
	v_add_f64 v[126:127], v[14:15], v[12:13]
	v_fma_f64 v[54:55], v[4:5], s[14:15], -v[54:55]
	v_fma_f64 v[71:72], v[6:7], s[0:1], v[71:72]
	v_add_f64 v[4:5], v[16:17], v[100:101]
	v_add_f64 v[6:7], v[48:49], v[132:133]
	;; [unrolled: 1-line block ×22, first 2 shown]
	v_mad_u32_u24 v52, 0xc0, v56, v57
	v_lshl_add_u32 v144, v66, 4, v140
	v_lshl_add_u32 v143, v65, 4, v140
	;; [unrolled: 1-line block ×3, first 2 shown]
	ds_write_b128 v52, v[8:11]
	ds_write_b128 v52, v[20:23] offset:16
	ds_write_b128 v52, v[4:7] offset:32
	;; [unrolled: 1-line block ×12, first 2 shown]
	s_waitcnt lgkmcnt(0)
	s_barrier
	buffer_gl0_inv
	ds_read_b128 v[8:11], v139
	ds_read_b128 v[32:35], v57 offset:2704
	v_lshl_add_u32 v145, v61, 4, v140
	ds_read_b128 v[40:43], v57 offset:3120
	ds_read_b128 v[36:39], v57 offset:3536
	v_lshl_add_u32 v141, v63, 4, v140
	ds_read_b128 v[20:23], v144
	ds_read_b128 v[12:15], v143
	ds_read_b128 v[48:51], v57 offset:3952
	ds_read_b128 v[44:47], v57 offset:4368
	ds_read_b128 v[24:27], v142
	ds_read_b128 v[16:19], v141
	;; [unrolled: 1-line block ×3, first 2 shown]
	ds_read_b128 v[52:55], v57 offset:4784
	v_cmp_gt_u32_e64 s0, 13, v56
	v_lshlrev_b32_e32 v67, 4, v60
                                        ; implicit-def: $vgpr6_vgpr7
	s_and_saveexec_b32 s1, s0
	s_cbranch_execz .LBB0_15
; %bb.14:
	v_add3_u32 v0, 0, v67, v83
	ds_read_b128 v[0:3], v0
	ds_read_b128 v[4:7], v57 offset:5200
.LBB0_15:
	s_or_b32 exec_lo, exec_lo, s1
	v_and_b32_e32 v68, 0xff, v61
	v_add_nc_u32_e32 v69, -13, v56
	v_mov_b32_e32 v82, 0
	v_and_b32_e32 v70, 0xff, v66
	v_and_b32_e32 v72, 0xff, v65
	v_mul_lo_u16 v68, 0x4f, v68
	v_cndmask_b32_e64 v81, v69, v56, s0
	v_and_b32_e32 v73, 0xff, v64
	v_mul_lo_u16 v75, 0x4f, v70
	v_and_b32_e32 v74, 0xff, v63
	v_lshrrev_b16 v108, 10, v68
	v_lshlrev_b64 v[68:69], 4, v[81:82]
	v_lshrrev_b16 v82, 10, v75
	v_mul_lo_u16 v76, v108, 13
	v_add_co_u32 v70, s1, s8, v68
	v_mul_lo_u16 v68, 0x4f, v72
	v_add_co_ci_u32_e64 v71, s1, s9, v69, s1
	v_mul_lo_u16 v69, 0x4f, v73
	v_mul_lo_u16 v72, 0x4f, v74
	v_lshrrev_b16 v109, 10, v68
	v_mul_lo_u16 v74, v82, 13
	v_sub_nc_u16 v73, v61, v76
	v_lshrrev_b16 v110, 10, v69
	v_lshrrev_b16 v111, 10, v72
	v_mov_b32_e32 v68, 4
	v_mul_lo_u16 v69, v109, 13
	v_sub_nc_u16 v72, v66, v74
	v_mul_lo_u16 v74, v110, 13
	v_mul_lo_u16 v75, v111, 13
	v_lshlrev_b32_sdwa v112, v68, v73 dst_sel:DWORD dst_unused:UNUSED_PAD src0_sel:DWORD src1_sel:BYTE_0
	v_sub_nc_u16 v73, v65, v69
	v_lshlrev_b32_sdwa v113, v68, v72 dst_sel:DWORD dst_unused:UNUSED_PAD src0_sel:DWORD src1_sel:BYTE_0
	v_sub_nc_u16 v77, v64, v74
	v_sub_nc_u16 v84, v63, v75
	global_load_dwordx4 v[69:72], v[70:71], off
	v_lshlrev_b32_sdwa v114, v68, v73 dst_sel:DWORD dst_unused:UNUSED_PAD src0_sel:DWORD src1_sel:BYTE_0
	global_load_dwordx4 v[73:76], v112, s[8:9]
	v_lshlrev_b32_sdwa v115, v68, v77 dst_sel:DWORD dst_unused:UNUSED_PAD src0_sel:DWORD src1_sel:BYTE_0
	global_load_dwordx4 v[77:80], v113, s[8:9]
	v_lshlrev_b32_sdwa v116, v68, v84 dst_sel:DWORD dst_unused:UNUSED_PAD src0_sel:DWORD src1_sel:BYTE_0
	s_clause 0x2
	global_load_dwordx4 v[84:87], v114, s[8:9]
	global_load_dwordx4 v[88:91], v115, s[8:9]
	;; [unrolled: 1-line block ×3, first 2 shown]
	v_cmp_lt_u32_e64 s1, 12, v56
	s_waitcnt vmcnt(0) lgkmcnt(0)
	s_barrier
	buffer_gl0_inv
	v_mul_f64 v[96:97], v[34:35], v[71:72]
	v_mul_f64 v[71:72], v[32:33], v[71:72]
	;; [unrolled: 1-line block ×12, first 2 shown]
	v_fma_f64 v[32:33], v[32:33], v[69:70], v[96:97]
	v_fma_f64 v[34:35], v[34:35], v[69:70], -v[71:72]
	v_fma_f64 v[40:41], v[40:41], v[73:74], v[98:99]
	v_fma_f64 v[42:43], v[42:43], v[73:74], -v[75:76]
	v_fma_f64 v[69:70], v[36:37], v[77:78], v[100:101]
	v_fma_f64 v[71:72], v[38:39], v[77:78], -v[79:80]
	v_fma_f64 v[48:49], v[48:49], v[84:85], v[102:103]
	v_fma_f64 v[50:51], v[50:51], v[84:85], -v[86:87]
	v_fma_f64 v[73:74], v[44:45], v[88:89], v[104:105]
	v_fma_f64 v[75:76], v[46:47], v[88:89], -v[90:91]
	v_fma_f64 v[52:53], v[52:53], v[92:93], v[106:107]
	v_fma_f64 v[54:55], v[54:55], v[92:93], -v[94:95]
	v_cndmask_b32_e64 v36, 0, 0x1a0, s1
	v_lshlrev_b32_e32 v78, 4, v81
	v_add_nc_u32_e32 v77, 0, v36
	v_add_f64 v[32:33], v[8:9], -v[32:33]
	v_add_f64 v[34:35], v[10:11], -v[34:35]
	;; [unrolled: 1-line block ×12, first 2 shown]
	v_and_b32_e32 v70, 0xffff, v108
	v_and_b32_e32 v71, 0xffff, v82
	;; [unrolled: 1-line block ×5, first 2 shown]
	v_mad_u32_u24 v70, 0x1a0, v70, 0
	v_mad_u32_u24 v71, 0x1a0, v71, 0
	v_add3_u32 v69, v77, v78, v83
	v_mad_u32_u24 v72, 0x1a0, v72, 0
	v_mad_u32_u24 v73, 0x1a0, v73, 0
	v_fma_f64 v[8:9], v[8:9], 2.0, -v[32:33]
	v_fma_f64 v[10:11], v[10:11], 2.0, -v[34:35]
	;; [unrolled: 1-line block ×12, first 2 shown]
	v_mad_u32_u24 v74, 0x1a0, v74, 0
	v_add3_u32 v70, v70, v112, v83
	v_add3_u32 v71, v71, v113, v83
	;; [unrolled: 1-line block ×5, first 2 shown]
	ds_write_b128 v69, v[32:35] offset:208
	ds_write_b128 v69, v[8:11]
	ds_write_b128 v70, v[36:39] offset:208
	ds_write_b128 v70, v[28:31]
	ds_write_b128 v71, v[20:23]
	ds_write_b128 v71, v[40:43] offset:208
	ds_write_b128 v72, v[12:15]
	ds_write_b128 v72, v[44:47] offset:208
	ds_write_b128 v73, v[24:27]
	ds_write_b128 v73, v[48:51] offset:208
	ds_write_b128 v74, v[16:19]
	ds_write_b128 v74, v[52:55] offset:208
	s_and_saveexec_b32 s1, s0
	s_cbranch_execz .LBB0_17
; %bb.16:
	v_and_b32_e32 v8, 0xff, v60
	v_mul_lo_u16 v8, 0x4f, v8
	v_lshrrev_b16 v8, 10, v8
	v_mul_lo_u16 v8, v8, 13
	v_sub_nc_u16 v8, v60, v8
	v_lshlrev_b32_sdwa v14, v68, v8 dst_sel:DWORD dst_unused:UNUSED_PAD src0_sel:DWORD src1_sel:BYTE_0
	global_load_dwordx4 v[8:11], v14, s[8:9]
	s_waitcnt vmcnt(0)
	v_mul_f64 v[12:13], v[4:5], v[10:11]
	v_mul_f64 v[10:11], v[6:7], v[10:11]
	v_fma_f64 v[6:7], v[6:7], v[8:9], -v[12:13]
	v_fma_f64 v[4:5], v[4:5], v[8:9], v[10:11]
	v_add3_u32 v8, 0, v14, v83
	v_add_f64 v[6:7], v[2:3], -v[6:7]
	v_add_f64 v[4:5], v[0:1], -v[4:5]
	v_fma_f64 v[2:3], v[2:3], 2.0, -v[6:7]
	v_fma_f64 v[0:1], v[0:1], 2.0, -v[4:5]
	ds_write_b128 v8, v[0:3] offset:4992
	ds_write_b128 v8, v[4:7] offset:5200
.LBB0_17:
	s_or_b32 exec_lo, exec_lo, s1
	v_mul_u32_u24_e32 v0, 12, v56
	s_waitcnt lgkmcnt(0)
	s_barrier
	buffer_gl0_inv
	s_mov_b32 s30, 0x4267c47c
	v_lshlrev_b32_e32 v0, 4, v0
	s_mov_b32 s28, 0x42a4c3d2
	s_mov_b32 s20, 0x66966769
	;; [unrolled: 1-line block ×4, first 2 shown]
	s_clause 0x1
	global_load_dwordx4 v[1:4], v0, s[8:9] offset:208
	global_load_dwordx4 v[5:8], v0, s[8:9] offset:224
	ds_read_b128 v[9:12], v145
	ds_read_b128 v[69:72], v57 offset:4992
	ds_read_b128 v[16:19], v144
	global_load_dwordx4 v[22:25], v0, s[8:9] offset:240
	s_mov_b32 s42, 0x4bc48dbf
	s_mov_b32 s31, 0xbfddbe06
	;; [unrolled: 1-line block ×28, first 2 shown]
	s_waitcnt vmcnt(2) lgkmcnt(2)
	v_mul_f64 v[13:14], v[11:12], v[3:4]
	v_mul_f64 v[3:4], v[9:10], v[3:4]
	v_fma_f64 v[13:14], v[9:10], v[1:2], v[13:14]
	v_fma_f64 v[73:74], v[11:12], v[1:2], -v[3:4]
	ds_read_b128 v[1:4], v143
	s_waitcnt vmcnt(1) lgkmcnt(1)
	v_mul_f64 v[9:10], v[18:19], v[7:8]
	v_mul_f64 v[7:8], v[16:17], v[7:8]
	v_fma_f64 v[16:17], v[16:17], v[5:6], v[9:10]
	v_fma_f64 v[18:19], v[18:19], v[5:6], -v[7:8]
	global_load_dwordx4 v[5:8], v0, s[8:9] offset:256
	s_waitcnt vmcnt(1) lgkmcnt(0)
	v_mul_f64 v[9:10], v[3:4], v[24:25]
	v_mul_f64 v[11:12], v[1:2], v[24:25]
	v_fma_f64 v[20:21], v[1:2], v[22:23], v[9:10]
	v_fma_f64 v[22:23], v[3:4], v[22:23], -v[11:12]
	ds_read_b128 v[1:4], v142
	ds_read_b128 v[9:12], v141
	s_waitcnt vmcnt(0) lgkmcnt(1)
	v_mul_f64 v[24:25], v[3:4], v[7:8]
	v_fma_f64 v[24:25], v[1:2], v[5:6], v[24:25]
	v_mul_f64 v[1:2], v[1:2], v[7:8]
	v_fma_f64 v[26:27], v[3:4], v[5:6], -v[1:2]
	s_clause 0x1
	global_load_dwordx4 v[1:4], v0, s[8:9] offset:272
	global_load_dwordx4 v[5:8], v0, s[8:9] offset:288
	s_waitcnt vmcnt(1) lgkmcnt(0)
	v_mul_f64 v[28:29], v[11:12], v[3:4]
	v_mul_f64 v[3:4], v[9:10], v[3:4]
	v_fma_f64 v[28:29], v[9:10], v[1:2], v[28:29]
	v_fma_f64 v[30:31], v[11:12], v[1:2], -v[3:4]
	v_add3_u32 v1, 0, v67, v83
	ds_read_b128 v[1:4], v1
	s_waitcnt vmcnt(0) lgkmcnt(0)
	v_mul_f64 v[9:10], v[3:4], v[7:8]
	v_fma_f64 v[32:33], v[1:2], v[5:6], v[9:10]
	v_mul_f64 v[1:2], v[1:2], v[7:8]
	v_fma_f64 v[34:35], v[3:4], v[5:6], -v[1:2]
	s_clause 0x1
	global_load_dwordx4 v[1:4], v0, s[8:9] offset:304
	global_load_dwordx4 v[5:8], v0, s[8:9] offset:320
	ds_read_b128 v[9:12], v57 offset:2912
	ds_read_b128 v[75:78], v139
	s_waitcnt vmcnt(1) lgkmcnt(1)
	v_mul_f64 v[36:37], v[11:12], v[3:4]
	v_mul_f64 v[3:4], v[9:10], v[3:4]
	v_fma_f64 v[36:37], v[9:10], v[1:2], v[36:37]
	v_fma_f64 v[38:39], v[11:12], v[1:2], -v[3:4]
	ds_read_b128 v[1:4], v57 offset:3328
	ds_read_b128 v[9:12], v57 offset:3744
	s_waitcnt vmcnt(0) lgkmcnt(1)
	v_mul_f64 v[40:41], v[3:4], v[7:8]
	v_add_f64 v[164:165], v[32:33], v[36:37]
	v_add_f64 v[170:171], v[32:33], -v[36:37]
	v_fma_f64 v[40:41], v[1:2], v[5:6], v[40:41]
	v_mul_f64 v[1:2], v[1:2], v[7:8]
	v_fma_f64 v[42:43], v[3:4], v[5:6], -v[1:2]
	s_clause 0x1
	global_load_dwordx4 v[1:4], v0, s[8:9] offset:336
	global_load_dwordx4 v[5:8], v0, s[8:9] offset:352
	v_add_f64 v[154:155], v[30:31], -v[42:43]
	v_add_f64 v[158:159], v[30:31], v[42:43]
	v_mul_f64 v[156:157], v[154:155], s[18:19]
	v_mul_f64 v[160:161], v[158:159], s[22:23]
	s_waitcnt vmcnt(1) lgkmcnt(0)
	v_mul_f64 v[44:45], v[11:12], v[3:4]
	v_mul_f64 v[3:4], v[9:10], v[3:4]
	v_fma_f64 v[44:45], v[9:10], v[1:2], v[44:45]
	v_fma_f64 v[46:47], v[11:12], v[1:2], -v[3:4]
	ds_read_b128 v[1:4], v57 offset:4160
	ds_read_b128 v[9:12], v57 offset:4576
	s_waitcnt vmcnt(0) lgkmcnt(1)
	v_mul_f64 v[48:49], v[3:4], v[7:8]
	v_add_f64 v[133:134], v[26:27], v[46:47]
	v_fma_f64 v[48:49], v[1:2], v[5:6], v[48:49]
	v_mul_f64 v[1:2], v[1:2], v[7:8]
	v_mul_f64 v[152:153], v[133:134], s[14:15]
	v_fma_f64 v[50:51], v[3:4], v[5:6], -v[1:2]
	s_clause 0x1
	global_load_dwordx4 v[1:4], v0, s[8:9] offset:368
	global_load_dwordx4 v[5:8], v0, s[8:9] offset:384
	s_waitcnt vmcnt(0) lgkmcnt(0)
	s_barrier
	buffer_gl0_inv
	v_mul_f64 v[52:53], v[11:12], v[3:4]
	v_mul_f64 v[3:4], v[9:10], v[3:4]
	v_fma_f64 v[52:53], v[9:10], v[1:2], v[52:53]
	v_fma_f64 v[54:55], v[11:12], v[1:2], -v[3:4]
	v_mul_f64 v[0:1], v[71:72], v[7:8]
	v_fma_f64 v[67:68], v[69:70], v[5:6], v[0:1]
	v_mul_f64 v[0:1], v[69:70], v[7:8]
	v_add_f64 v[99:100], v[13:14], -v[67:68]
	v_fma_f64 v[69:70], v[71:72], v[5:6], -v[0:1]
	v_add_f64 v[71:72], v[13:14], v[67:68]
	v_add_f64 v[0:1], v[73:74], -v[69:70]
	v_mul_f64 v[2:3], v[0:1], s[30:31]
	v_mul_f64 v[4:5], v[0:1], s[28:29]
	;; [unrolled: 1-line block ×6, first 2 shown]
	v_fma_f64 v[79:80], v[71:72], s[16:17], v[2:3]
	v_fma_f64 v[2:3], v[71:72], s[16:17], -v[2:3]
	v_fma_f64 v[81:82], v[71:72], s[12:13], v[4:5]
	v_fma_f64 v[4:5], v[71:72], s[12:13], -v[4:5]
	v_fma_f64 v[83:84], v[71:72], s[4:5], v[6:7]
	v_fma_f64 v[97:98], v[71:72], s[36:37], v[0:1]
	v_fma_f64 v[107:108], v[71:72], s[36:37], -v[0:1]
	v_add_f64 v[0:1], v[73:74], v[69:70]
	v_fma_f64 v[6:7], v[71:72], s[4:5], -v[6:7]
	v_fma_f64 v[85:86], v[71:72], s[14:15], v[8:9]
	v_fma_f64 v[87:88], v[71:72], s[14:15], -v[8:9]
	v_fma_f64 v[89:90], v[71:72], s[22:23], v[10:11]
	v_fma_f64 v[95:96], v[71:72], s[22:23], -v[10:11]
	v_add_f64 v[73:74], v[77:78], v[73:74]
	v_add_f64 v[129:130], v[75:76], v[79:80]
	;; [unrolled: 1-line block ×5, first 2 shown]
	v_mul_f64 v[8:9], v[0:1], s[16:17]
	v_mul_f64 v[71:72], v[0:1], s[4:5]
	;; [unrolled: 1-line block ×6, first 2 shown]
	v_add_f64 v[111:112], v[75:76], v[6:7]
	v_fma_f64 v[101:102], v[99:100], s[26:27], v[8:9]
	v_fma_f64 v[109:110], v[99:100], s[6:7], v[71:72]
	;; [unrolled: 1-line block ×5, first 2 shown]
	v_add_f64 v[93:94], v[75:76], v[89:90]
	v_add_f64 v[89:90], v[75:76], v[95:96]
	v_add_f64 v[95:96], v[18:19], -v[54:55]
	v_fma_f64 v[8:9], v[99:100], s[30:31], v[8:9]
	v_fma_f64 v[105:106], v[99:100], s[28:29], v[10:11]
	;; [unrolled: 1-line block ×7, first 2 shown]
	v_add_f64 v[71:72], v[75:76], v[13:14]
	v_add_f64 v[14:15], v[75:76], v[81:82]
	;; [unrolled: 1-line block ×11, first 2 shown]
	v_add_f64 v[117:118], v[22:23], -v[50:51]
	v_mul_f64 v[123:124], v[95:96], s[28:29]
	v_add_f64 v[0:1], v[77:78], v[8:9]
	v_add_f64 v[8:9], v[77:78], v[105:106]
	;; [unrolled: 1-line block ×10, first 2 shown]
	v_add_f64 v[85:86], v[16:17], -v[52:53]
	v_mul_f64 v[125:126], v[97:98], s[12:13]
	v_add_f64 v[121:122], v[22:23], v[50:51]
	v_add_f64 v[77:78], v[77:78], v[127:128]
	;; [unrolled: 1-line block ×4, first 2 shown]
	v_mul_f64 v[146:147], v[117:118], s[20:21]
	v_fma_f64 v[4:5], v[83:84], s[12:13], v[123:124]
	v_fma_f64 v[123:124], v[83:84], s[12:13], -v[123:124]
	v_fma_f64 v[6:7], v[85:86], s[24:25], v[125:126]
	v_mul_f64 v[148:149], v[121:122], s[4:5]
	v_add_f64 v[16:17], v[16:17], v[20:21]
	v_add_f64 v[18:19], v[18:19], v[26:27]
	v_fma_f64 v[119:120], v[107:108], s[4:5], v[146:147]
	v_add_f64 v[4:5], v[4:5], v[129:130]
	v_add_f64 v[2:3], v[123:124], v[2:3]
	v_fma_f64 v[123:124], v[85:86], s[28:29], v[125:126]
	v_add_f64 v[6:7], v[6:7], v[131:132]
	v_add_f64 v[131:132], v[26:27], -v[46:47]
	v_add_f64 v[16:17], v[16:17], v[24:25]
	v_add_f64 v[18:19], v[18:19], v[30:31]
	;; [unrolled: 1-line block ×3, first 2 shown]
	v_add_f64 v[119:120], v[20:21], -v[48:49]
	v_add_f64 v[0:1], v[123:124], v[0:1]
	v_fma_f64 v[123:124], v[107:108], s[4:5], -v[146:147]
	v_mul_f64 v[150:151], v[131:132], s[10:11]
	v_add_f64 v[16:17], v[16:17], v[28:29]
	v_add_f64 v[18:19], v[18:19], v[34:35]
	v_fma_f64 v[127:128], v[119:120], s[6:7], v[148:149]
	v_add_f64 v[2:3], v[123:124], v[2:3]
	v_fma_f64 v[123:124], v[119:120], s[20:21], v[148:149]
	v_add_f64 v[16:17], v[16:17], v[32:33]
	v_add_f64 v[18:19], v[18:19], v[38:39]
	;; [unrolled: 1-line block ×7, first 2 shown]
	v_fma_f64 v[129:130], v[127:128], s[14:15], v[150:151]
	v_fma_f64 v[123:124], v[127:128], s[14:15], -v[150:151]
	v_add_f64 v[16:17], v[16:17], v[40:41]
	v_add_f64 v[18:19], v[18:19], v[46:47]
	;; [unrolled: 1-line block ×3, first 2 shown]
	v_add_f64 v[129:130], v[24:25], -v[44:45]
	v_add_f64 v[2:3], v[123:124], v[2:3]
	v_add_f64 v[16:17], v[16:17], v[44:45]
	;; [unrolled: 1-line block ×3, first 2 shown]
	v_fma_f64 v[135:136], v[129:130], s[34:35], v[152:153]
	v_fma_f64 v[123:124], v[129:130], s[10:11], v[152:153]
	v_add_f64 v[16:17], v[16:17], v[48:49]
	v_add_f64 v[18:19], v[18:19], v[54:55]
	;; [unrolled: 1-line block ×7, first 2 shown]
	v_fma_f64 v[137:138], v[135:136], s[22:23], v[156:157]
	v_fma_f64 v[123:124], v[135:136], s[22:23], -v[156:157]
	v_add_f64 v[16:17], v[16:17], v[67:68]
	v_add_f64 v[4:5], v[137:138], v[4:5]
	v_add_f64 v[137:138], v[28:29], -v[40:41]
	v_add_f64 v[2:3], v[123:124], v[2:3]
	v_fma_f64 v[162:163], v[137:138], s[38:39], v[160:161]
	v_fma_f64 v[123:124], v[137:138], s[18:19], v[160:161]
	v_add_f64 v[6:7], v[162:163], v[6:7]
	v_add_f64 v[162:163], v[34:35], -v[38:39]
	v_add_f64 v[123:124], v[123:124], v[0:1]
	v_mul_f64 v[166:167], v[162:163], s[42:43]
	v_fma_f64 v[168:169], v[164:165], s[36:37], v[166:167]
	v_fma_f64 v[0:1], v[164:165], s[36:37], -v[166:167]
	v_add_f64 v[4:5], v[168:169], v[4:5]
	v_add_f64 v[168:169], v[34:35], v[38:39]
	;; [unrolled: 1-line block ×3, first 2 shown]
	v_mul_f64 v[172:173], v[168:169], s[36:37]
	v_fma_f64 v[125:126], v[170:171], s[42:43], v[172:173]
	v_fma_f64 v[174:175], v[170:171], s[40:41], v[172:173]
	v_mul_f64 v[172:173], v[162:163], s[26:27]
	v_add_f64 v[2:3], v[125:126], v[123:124]
	v_mul_f64 v[123:124], v[95:96], s[10:11]
	v_add_f64 v[6:7], v[174:175], v[6:7]
	v_mul_f64 v[174:175], v[168:169], s[16:17]
	v_fma_f64 v[125:126], v[83:84], s[14:15], v[123:124]
	v_fma_f64 v[123:124], v[83:84], s[14:15], -v[123:124]
	v_add_f64 v[14:15], v[125:126], v[14:15]
	v_mul_f64 v[125:126], v[97:98], s[14:15]
	v_add_f64 v[10:11], v[123:124], v[10:11]
	v_fma_f64 v[146:147], v[85:86], s[34:35], v[125:126]
	v_fma_f64 v[123:124], v[85:86], s[10:11], v[125:126]
	;; [unrolled: 1-line block ×3, first 2 shown]
	v_add_f64 v[12:13], v[146:147], v[12:13]
	v_mul_f64 v[146:147], v[117:118], s[42:43]
	v_add_f64 v[8:9], v[123:124], v[8:9]
	v_fma_f64 v[148:149], v[107:108], s[36:37], v[146:147]
	v_fma_f64 v[123:124], v[107:108], s[36:37], -v[146:147]
	v_add_f64 v[14:15], v[148:149], v[14:15]
	v_mul_f64 v[148:149], v[121:122], s[36:37]
	v_add_f64 v[10:11], v[123:124], v[10:11]
	v_fma_f64 v[150:151], v[119:120], s[40:41], v[148:149]
	v_fma_f64 v[123:124], v[119:120], s[42:43], v[148:149]
	v_add_f64 v[12:13], v[150:151], v[12:13]
	v_mul_f64 v[150:151], v[131:132], s[38:39]
	v_add_f64 v[8:9], v[123:124], v[8:9]
	v_fma_f64 v[152:153], v[127:128], s[22:23], v[150:151]
	v_fma_f64 v[123:124], v[127:128], s[22:23], -v[150:151]
	v_add_f64 v[14:15], v[152:153], v[14:15]
	v_mul_f64 v[152:153], v[133:134], s[22:23]
	v_add_f64 v[10:11], v[123:124], v[10:11]
	v_fma_f64 v[156:157], v[129:130], s[18:19], v[152:153]
	v_fma_f64 v[123:124], v[129:130], s[38:39], v[152:153]
	;; [unrolled: 10-line block ×3, first 2 shown]
	v_add_f64 v[123:124], v[123:124], v[8:9]
	v_fma_f64 v[8:9], v[164:165], s[16:17], -v[172:173]
	v_add_f64 v[166:167], v[166:167], v[12:13]
	v_fma_f64 v[12:13], v[164:165], s[16:17], v[172:173]
	v_mul_f64 v[172:173], v[162:163], s[18:19]
	v_add_f64 v[8:9], v[8:9], v[10:11]
	v_add_f64 v[10:11], v[125:126], v[123:124]
	v_mul_f64 v[123:124], v[95:96], s[42:43]
	v_add_f64 v[12:13], v[12:13], v[14:15]
	v_fma_f64 v[14:15], v[170:171], s[30:31], v[174:175]
	v_mul_f64 v[174:175], v[168:169], s[22:23]
	v_fma_f64 v[125:126], v[83:84], s[36:37], v[123:124]
	v_fma_f64 v[123:124], v[83:84], s[36:37], -v[123:124]
	v_add_f64 v[14:15], v[14:15], v[166:167]
	v_add_f64 v[115:116], v[125:126], v[115:116]
	v_mul_f64 v[125:126], v[97:98], s[36:37]
	v_add_f64 v[111:112], v[123:124], v[111:112]
	v_fma_f64 v[146:147], v[85:86], s[40:41], v[125:126]
	v_fma_f64 v[123:124], v[85:86], s[42:43], v[125:126]
	;; [unrolled: 1-line block ×3, first 2 shown]
	v_add_f64 v[113:114], v[146:147], v[113:114]
	v_mul_f64 v[146:147], v[117:118], s[34:35]
	v_add_f64 v[109:110], v[123:124], v[109:110]
	v_fma_f64 v[148:149], v[107:108], s[14:15], v[146:147]
	v_fma_f64 v[123:124], v[107:108], s[14:15], -v[146:147]
	v_add_f64 v[115:116], v[148:149], v[115:116]
	v_mul_f64 v[148:149], v[121:122], s[14:15]
	v_add_f64 v[111:112], v[123:124], v[111:112]
	v_fma_f64 v[150:151], v[119:120], s[10:11], v[148:149]
	v_fma_f64 v[123:124], v[119:120], s[34:35], v[148:149]
	v_add_f64 v[113:114], v[150:151], v[113:114]
	v_mul_f64 v[150:151], v[131:132], s[26:27]
	v_add_f64 v[109:110], v[123:124], v[109:110]
	v_fma_f64 v[152:153], v[127:128], s[16:17], v[150:151]
	v_fma_f64 v[123:124], v[127:128], s[16:17], -v[150:151]
	v_add_f64 v[115:116], v[152:153], v[115:116]
	v_mul_f64 v[152:153], v[133:134], s[16:17]
	v_add_f64 v[111:112], v[123:124], v[111:112]
	v_fma_f64 v[156:157], v[129:130], s[30:31], v[152:153]
	v_fma_f64 v[123:124], v[129:130], s[26:27], v[152:153]
	;; [unrolled: 10-line block ×3, first 2 shown]
	v_add_f64 v[123:124], v[123:124], v[109:110]
	v_fma_f64 v[109:110], v[164:165], s[22:23], -v[172:173]
	v_add_f64 v[166:167], v[166:167], v[113:114]
	v_fma_f64 v[113:114], v[164:165], s[22:23], v[172:173]
	v_mul_f64 v[172:173], v[162:163], s[24:25]
	v_add_f64 v[109:110], v[109:110], v[111:112]
	v_add_f64 v[111:112], v[125:126], v[123:124]
	v_mul_f64 v[123:124], v[95:96], s[38:39]
	v_add_f64 v[113:114], v[113:114], v[115:116]
	v_fma_f64 v[115:116], v[170:171], s[38:39], v[174:175]
	v_mul_f64 v[174:175], v[168:169], s[12:13]
	v_fma_f64 v[125:126], v[83:84], s[22:23], v[123:124]
	v_fma_f64 v[123:124], v[83:84], s[22:23], -v[123:124]
	v_add_f64 v[115:116], v[115:116], v[166:167]
	v_add_f64 v[105:106], v[125:126], v[105:106]
	v_mul_f64 v[125:126], v[97:98], s[22:23]
	v_add_f64 v[101:102], v[123:124], v[101:102]
	v_fma_f64 v[146:147], v[85:86], s[18:19], v[125:126]
	v_fma_f64 v[123:124], v[85:86], s[38:39], v[125:126]
	;; [unrolled: 1-line block ×3, first 2 shown]
	v_add_f64 v[103:104], v[146:147], v[103:104]
	v_mul_f64 v[146:147], v[117:118], s[26:27]
	v_add_f64 v[99:100], v[123:124], v[99:100]
	v_fma_f64 v[148:149], v[107:108], s[16:17], v[146:147]
	v_fma_f64 v[123:124], v[107:108], s[16:17], -v[146:147]
	v_add_f64 v[105:106], v[148:149], v[105:106]
	v_mul_f64 v[148:149], v[121:122], s[16:17]
	v_add_f64 v[101:102], v[123:124], v[101:102]
	v_fma_f64 v[150:151], v[119:120], s[30:31], v[148:149]
	v_fma_f64 v[123:124], v[119:120], s[26:27], v[148:149]
	v_add_f64 v[103:104], v[150:151], v[103:104]
	v_mul_f64 v[150:151], v[131:132], s[20:21]
	v_add_f64 v[99:100], v[123:124], v[99:100]
	v_fma_f64 v[152:153], v[127:128], s[4:5], v[150:151]
	v_fma_f64 v[123:124], v[127:128], s[4:5], -v[150:151]
	v_add_f64 v[105:106], v[152:153], v[105:106]
	v_mul_f64 v[152:153], v[133:134], s[4:5]
	v_add_f64 v[101:102], v[123:124], v[101:102]
	v_fma_f64 v[156:157], v[129:130], s[6:7], v[152:153]
	v_fma_f64 v[123:124], v[129:130], s[20:21], v[152:153]
	;; [unrolled: 10-line block ×3, first 2 shown]
	v_add_f64 v[123:124], v[123:124], v[99:100]
	v_fma_f64 v[99:100], v[164:165], s[12:13], -v[172:173]
	v_add_f64 v[166:167], v[166:167], v[103:104]
	v_fma_f64 v[103:104], v[164:165], s[12:13], v[172:173]
	v_mul_f64 v[172:173], v[162:163], s[10:11]
	v_add_f64 v[99:100], v[99:100], v[101:102]
	v_add_f64 v[101:102], v[125:126], v[123:124]
	v_mul_f64 v[123:124], v[95:96], s[6:7]
	v_add_f64 v[103:104], v[103:104], v[105:106]
	v_fma_f64 v[105:106], v[170:171], s[28:29], v[174:175]
	v_mul_f64 v[174:175], v[168:169], s[14:15]
	v_mul_f64 v[95:96], v[95:96], s[26:27]
	v_fma_f64 v[125:126], v[83:84], s[4:5], v[123:124]
	v_fma_f64 v[123:124], v[83:84], s[4:5], -v[123:124]
	v_add_f64 v[105:106], v[105:106], v[166:167]
	v_add_f64 v[93:94], v[125:126], v[93:94]
	v_mul_f64 v[125:126], v[97:98], s[4:5]
	v_add_f64 v[89:90], v[123:124], v[89:90]
	v_mul_f64 v[97:98], v[97:98], s[16:17]
	v_fma_f64 v[146:147], v[85:86], s[20:21], v[125:126]
	v_fma_f64 v[123:124], v[85:86], s[6:7], v[125:126]
	;; [unrolled: 1-line block ×3, first 2 shown]
	v_add_f64 v[91:92], v[146:147], v[91:92]
	v_mul_f64 v[146:147], v[117:118], s[28:29]
	v_add_f64 v[87:88], v[123:124], v[87:88]
	v_mul_f64 v[117:118], v[117:118], s[18:19]
	v_fma_f64 v[148:149], v[107:108], s[12:13], v[146:147]
	v_fma_f64 v[123:124], v[107:108], s[12:13], -v[146:147]
	v_add_f64 v[93:94], v[148:149], v[93:94]
	v_mul_f64 v[148:149], v[121:122], s[12:13]
	v_add_f64 v[89:90], v[123:124], v[89:90]
	v_mul_f64 v[121:122], v[121:122], s[22:23]
	v_fma_f64 v[150:151], v[119:120], s[24:25], v[148:149]
	v_fma_f64 v[123:124], v[119:120], s[28:29], v[148:149]
	v_mul_f64 v[148:149], v[162:163], s[6:7]
	v_add_f64 v[91:92], v[150:151], v[91:92]
	v_mul_f64 v[150:151], v[131:132], s[40:41]
	v_add_f64 v[87:88], v[123:124], v[87:88]
	v_fma_f64 v[152:153], v[127:128], s[36:37], v[150:151]
	v_fma_f64 v[123:124], v[127:128], s[36:37], -v[150:151]
	v_mul_f64 v[150:151], v[168:169], s[4:5]
	v_add_f64 v[93:94], v[152:153], v[93:94]
	v_mul_f64 v[152:153], v[133:134], s[36:37]
	v_add_f64 v[89:90], v[123:124], v[89:90]
	v_fma_f64 v[156:157], v[129:130], s[42:43], v[152:153]
	v_fma_f64 v[123:124], v[129:130], s[40:41], v[152:153]
	v_add_f64 v[91:92], v[156:157], v[91:92]
	v_mul_f64 v[156:157], v[154:155], s[26:27]
	v_add_f64 v[87:88], v[123:124], v[87:88]
	v_fma_f64 v[160:161], v[135:136], s[16:17], v[156:157]
	v_fma_f64 v[123:124], v[135:136], s[16:17], -v[156:157]
	v_add_f64 v[93:94], v[160:161], v[93:94]
	v_mul_f64 v[160:161], v[158:159], s[16:17]
	v_add_f64 v[89:90], v[123:124], v[89:90]
	v_fma_f64 v[123:124], v[137:138], s[26:27], v[160:161]
	v_fma_f64 v[166:167], v[137:138], s[30:31], v[160:161]
	v_add_f64 v[123:124], v[123:124], v[87:88]
	v_fma_f64 v[87:88], v[164:165], s[14:15], -v[172:173]
	v_add_f64 v[166:167], v[166:167], v[91:92]
	v_fma_f64 v[91:92], v[164:165], s[14:15], v[172:173]
	v_add_f64 v[87:88], v[87:88], v[89:90]
	v_add_f64 v[89:90], v[125:126], v[123:124]
	v_fma_f64 v[123:124], v[83:84], s[16:17], v[95:96]
	v_fma_f64 v[83:84], v[83:84], s[16:17], -v[95:96]
	v_fma_f64 v[95:96], v[107:108], s[22:23], -v[117:118]
	v_add_f64 v[91:92], v[91:92], v[93:94]
	v_fma_f64 v[93:94], v[170:171], s[34:35], v[174:175]
	v_add_f64 v[81:82], v[123:124], v[81:82]
	v_fma_f64 v[123:124], v[85:86], s[30:31], v[97:98]
	v_fma_f64 v[85:86], v[85:86], s[26:27], v[97:98]
	;; [unrolled: 1-line block ×3, first 2 shown]
	v_add_f64 v[75:76], v[83:84], v[75:76]
	v_add_f64 v[93:94], v[93:94], v[166:167]
	;; [unrolled: 1-line block ×3, first 2 shown]
	v_fma_f64 v[123:124], v[107:108], s[22:23], v[117:118]
	v_add_f64 v[77:78], v[85:86], v[77:78]
	v_add_f64 v[75:76], v[95:96], v[75:76]
	;; [unrolled: 1-line block ×3, first 2 shown]
	v_fma_f64 v[123:124], v[119:120], s[38:39], v[121:122]
	v_add_f64 v[77:78], v[97:98], v[77:78]
	v_add_f64 v[79:80], v[123:124], v[79:80]
	v_mul_f64 v[123:124], v[131:132], s[24:25]
	v_fma_f64 v[125:126], v[127:128], s[12:13], v[123:124]
	v_fma_f64 v[83:84], v[127:128], s[12:13], -v[123:124]
	v_add_f64 v[81:82], v[125:126], v[81:82]
	v_mul_f64 v[125:126], v[133:134], s[12:13]
	v_add_f64 v[75:76], v[83:84], v[75:76]
	v_fma_f64 v[83:84], v[164:165], s[4:5], -v[148:149]
	v_fma_f64 v[131:132], v[129:130], s[28:29], v[125:126]
	v_fma_f64 v[85:86], v[129:130], s[24:25], v[125:126]
	v_add_f64 v[79:80], v[131:132], v[79:80]
	v_mul_f64 v[131:132], v[154:155], s[10:11]
	v_add_f64 v[77:78], v[85:86], v[77:78]
	v_fma_f64 v[85:86], v[170:171], s[6:7], v[150:151]
	s_mov_b32 s6, exec_lo
	v_fma_f64 v[133:134], v[135:136], s[14:15], v[131:132]
	v_fma_f64 v[95:96], v[135:136], s[14:15], -v[131:132]
	v_add_f64 v[81:82], v[133:134], v[81:82]
	v_mul_f64 v[133:134], v[158:159], s[14:15]
	v_add_f64 v[75:76], v[95:96], v[75:76]
	v_fma_f64 v[146:147], v[137:138], s[34:35], v[133:134]
	v_fma_f64 v[97:98], v[137:138], s[10:11], v[133:134]
	v_add_f64 v[75:76], v[83:84], v[75:76]
	v_add_f64 v[146:147], v[146:147], v[79:80]
	v_fma_f64 v[79:80], v[164:165], s[4:5], v[148:149]
	v_add_f64 v[77:78], v[97:98], v[77:78]
	s_add_u32 s4, s8, 0x1450
	s_addc_u32 s5, s9, 0
	v_add_f64 v[79:80], v[79:80], v[81:82]
	v_fma_f64 v[81:82], v[170:171], s[20:21], v[150:151]
	v_add_f64 v[77:78], v[85:86], v[77:78]
	v_add_f64 v[81:82], v[81:82], v[146:147]
	ds_write_b128 v57, v[4:7] offset:416
	ds_write_b128 v57, v[12:15] offset:832
	;; [unrolled: 1-line block ×12, first 2 shown]
	ds_write_b128 v57, v[16:19]
	s_waitcnt lgkmcnt(0)
	s_barrier
	buffer_gl0_inv
	ds_read_b128 v[4:7], v139
	v_sub_nc_u32_e32 v10, v140, v62
                                        ; implicit-def: $vgpr2_vgpr3
                                        ; implicit-def: $vgpr8_vgpr9
	v_cmpx_ne_u32_e32 0, v56
	s_xor_b32 s6, exec_lo, s6
	s_cbranch_execz .LBB0_19
; %bb.18:
	v_mov_b32_e32 v57, 0
	v_lshlrev_b64 v[0:1], 4, v[56:57]
	v_add_co_u32 v0, s1, s4, v0
	v_add_co_ci_u32_e64 v1, s1, s5, v1, s1
	global_load_dwordx4 v[11:14], v[0:1], off
	ds_read_b128 v[0:3], v10 offset:5408
	s_waitcnt lgkmcnt(0)
	v_add_f64 v[8:9], v[4:5], -v[0:1]
	v_add_f64 v[15:16], v[6:7], v[2:3]
	v_add_f64 v[2:3], v[6:7], -v[2:3]
	v_add_f64 v[0:1], v[4:5], v[0:1]
	v_mul_f64 v[6:7], v[8:9], 0.5
	v_mul_f64 v[4:5], v[15:16], 0.5
	;; [unrolled: 1-line block ×3, first 2 shown]
	s_waitcnt vmcnt(0)
	v_mul_f64 v[8:9], v[6:7], v[13:14]
	v_fma_f64 v[15:16], v[4:5], v[13:14], v[2:3]
	v_fma_f64 v[2:3], v[4:5], v[13:14], -v[2:3]
	v_fma_f64 v[17:18], v[0:1], 0.5, v[8:9]
	v_fma_f64 v[0:1], v[0:1], 0.5, -v[8:9]
	v_fma_f64 v[8:9], -v[11:12], v[6:7], v[15:16]
	v_fma_f64 v[2:3], -v[11:12], v[6:7], v[2:3]
	v_fma_f64 v[13:14], v[4:5], v[11:12], v[17:18]
	v_fma_f64 v[0:1], -v[4:5], v[11:12], v[0:1]
                                        ; implicit-def: $vgpr4_vgpr5
	ds_write_b64 v139, v[13:14]
.LBB0_19:
	s_andn2_saveexec_b32 s1, s6
	s_cbranch_execz .LBB0_21
; %bb.20:
	ds_read_b64 v[11:12], v140 offset:2712
	s_waitcnt lgkmcnt(1)
	v_add_f64 v[13:14], v[4:5], v[6:7]
	v_add_f64 v[0:1], v[4:5], -v[6:7]
	v_mov_b32_e32 v8, 0
	v_mov_b32_e32 v9, 0
	;; [unrolled: 1-line block ×4, first 2 shown]
	s_waitcnt lgkmcnt(0)
	v_xor_b32_e32 v12, 0x80000000, v12
	ds_write_b64 v139, v[13:14]
	ds_write_b64 v140, v[11:12] offset:2712
.LBB0_21:
	s_or_b32 exec_lo, exec_lo, s1
	v_mov_b32_e32 v62, 0
	ds_write_b64 v139, v[8:9] offset:8
	ds_write_b128 v10, v[0:3] offset:5408
	s_waitcnt lgkmcnt(2)
	v_lshlrev_b64 v[4:5], 4, v[61:62]
	v_mov_b32_e32 v67, v62
	v_lshlrev_b64 v[11:12], 4, v[66:67]
	v_add_co_u32 v4, s1, s4, v4
	v_add_co_ci_u32_e64 v5, s1, s5, v5, s1
	v_mov_b32_e32 v66, v62
	v_add_co_u32 v11, s1, s4, v11
	global_load_dwordx4 v[4:7], v[4:5], off
	v_add_co_ci_u32_e64 v12, s1, s5, v12, s1
	v_lshlrev_b64 v[8:9], 4, v[65:66]
	v_mov_b32_e32 v65, v62
	global_load_dwordx4 v[11:14], v[11:12], off
	ds_read_b128 v[0:3], v145
	ds_read_b128 v[15:18], v10 offset:4992
	v_add_co_u32 v8, s1, s4, v8
	v_add_co_ci_u32_e64 v9, s1, s5, v9, s1
	global_load_dwordx4 v[19:22], v[8:9], off
	s_waitcnt lgkmcnt(0)
	v_add_f64 v[8:9], v[0:1], -v[15:16]
	v_add_f64 v[23:24], v[2:3], v[17:18]
	v_add_f64 v[2:3], v[2:3], -v[17:18]
	v_add_f64 v[0:1], v[0:1], v[15:16]
	v_mul_f64 v[8:9], v[8:9], 0.5
	v_mul_f64 v[17:18], v[23:24], 0.5
	;; [unrolled: 1-line block ×3, first 2 shown]
	s_waitcnt vmcnt(2)
	v_mul_f64 v[15:16], v[8:9], v[6:7]
	v_fma_f64 v[23:24], v[17:18], v[6:7], v[2:3]
	v_fma_f64 v[6:7], v[17:18], v[6:7], -v[2:3]
	v_fma_f64 v[25:26], v[0:1], 0.5, v[15:16]
	v_fma_f64 v[15:16], v[0:1], 0.5, -v[15:16]
	v_fma_f64 v[2:3], -v[4:5], v[8:9], v[23:24]
	v_fma_f64 v[6:7], -v[4:5], v[8:9], v[6:7]
	v_lshlrev_b64 v[8:9], 4, v[64:65]
	v_mov_b32_e32 v64, v62
	v_add_co_u32 v8, s1, s4, v8
	v_add_co_ci_u32_e64 v9, s1, s5, v9, s1
	v_fma_f64 v[0:1], v[17:18], v[4:5], v[25:26]
	v_fma_f64 v[4:5], -v[17:18], v[4:5], v[15:16]
	ds_write_b128 v145, v[0:3]
	ds_write_b128 v10, v[4:7] offset:4992
	ds_read_b128 v[0:3], v144
	ds_read_b128 v[4:7], v10 offset:4576
	global_load_dwordx4 v[15:18], v[8:9], off
	s_waitcnt lgkmcnt(0)
	v_add_f64 v[8:9], v[0:1], -v[4:5]
	v_add_f64 v[23:24], v[2:3], v[6:7]
	v_add_f64 v[2:3], v[2:3], -v[6:7]
	v_add_f64 v[0:1], v[0:1], v[4:5]
	v_mul_f64 v[6:7], v[8:9], 0.5
	v_mul_f64 v[8:9], v[23:24], 0.5
	;; [unrolled: 1-line block ×3, first 2 shown]
	s_waitcnt vmcnt(2)
	v_mul_f64 v[4:5], v[6:7], v[13:14]
	v_fma_f64 v[23:24], v[8:9], v[13:14], v[2:3]
	v_fma_f64 v[13:14], v[8:9], v[13:14], -v[2:3]
	v_fma_f64 v[25:26], v[0:1], 0.5, v[4:5]
	v_fma_f64 v[4:5], v[0:1], 0.5, -v[4:5]
	v_fma_f64 v[2:3], -v[11:12], v[6:7], v[23:24]
	v_fma_f64 v[6:7], -v[11:12], v[6:7], v[13:14]
	v_fma_f64 v[0:1], v[8:9], v[11:12], v[25:26]
	v_fma_f64 v[4:5], -v[8:9], v[11:12], v[4:5]
	v_lshlrev_b64 v[8:9], 4, v[63:64]
	ds_write_b128 v144, v[0:3]
	ds_write_b128 v10, v[4:7] offset:4576
	v_add_co_u32 v8, s1, s4, v8
	ds_read_b128 v[0:3], v143
	ds_read_b128 v[4:7], v10 offset:4160
	v_add_co_ci_u32_e64 v9, s1, s5, v9, s1
	global_load_dwordx4 v[11:14], v[8:9], off
	s_waitcnt lgkmcnt(0)
	v_add_f64 v[8:9], v[0:1], -v[4:5]
	v_add_f64 v[23:24], v[2:3], v[6:7]
	v_add_f64 v[2:3], v[2:3], -v[6:7]
	v_add_f64 v[0:1], v[0:1], v[4:5]
	v_mul_f64 v[6:7], v[8:9], 0.5
	v_mul_f64 v[8:9], v[23:24], 0.5
	;; [unrolled: 1-line block ×3, first 2 shown]
	s_waitcnt vmcnt(2)
	v_mul_f64 v[4:5], v[6:7], v[21:22]
	v_fma_f64 v[23:24], v[8:9], v[21:22], v[2:3]
	v_fma_f64 v[21:22], v[8:9], v[21:22], -v[2:3]
	v_fma_f64 v[25:26], v[0:1], 0.5, v[4:5]
	v_fma_f64 v[4:5], v[0:1], 0.5, -v[4:5]
	v_fma_f64 v[2:3], -v[19:20], v[6:7], v[23:24]
	v_fma_f64 v[6:7], -v[19:20], v[6:7], v[21:22]
	v_fma_f64 v[0:1], v[8:9], v[19:20], v[25:26]
	v_fma_f64 v[4:5], -v[8:9], v[19:20], v[4:5]
	ds_write_b128 v143, v[0:3]
	ds_write_b128 v10, v[4:7] offset:4160
	ds_read_b128 v[0:3], v142
	ds_read_b128 v[4:7], v10 offset:3744
	s_waitcnt lgkmcnt(0)
	v_add_f64 v[8:9], v[0:1], -v[4:5]
	v_add_f64 v[19:20], v[2:3], v[6:7]
	v_add_f64 v[2:3], v[2:3], -v[6:7]
	v_add_f64 v[0:1], v[0:1], v[4:5]
	v_mul_f64 v[6:7], v[8:9], 0.5
	v_mul_f64 v[8:9], v[19:20], 0.5
	;; [unrolled: 1-line block ×3, first 2 shown]
	s_waitcnt vmcnt(1)
	v_mul_f64 v[4:5], v[6:7], v[17:18]
	v_fma_f64 v[19:20], v[8:9], v[17:18], v[2:3]
	v_fma_f64 v[17:18], v[8:9], v[17:18], -v[2:3]
	v_fma_f64 v[21:22], v[0:1], 0.5, v[4:5]
	v_fma_f64 v[4:5], v[0:1], 0.5, -v[4:5]
	v_fma_f64 v[2:3], -v[15:16], v[6:7], v[19:20]
	v_fma_f64 v[6:7], -v[15:16], v[6:7], v[17:18]
	v_fma_f64 v[0:1], v[8:9], v[15:16], v[21:22]
	v_fma_f64 v[4:5], -v[8:9], v[15:16], v[4:5]
	ds_write_b128 v142, v[0:3]
	ds_write_b128 v10, v[4:7] offset:3744
	ds_read_b128 v[0:3], v141
	ds_read_b128 v[4:7], v10 offset:3328
	s_waitcnt lgkmcnt(0)
	v_add_f64 v[8:9], v[0:1], -v[4:5]
	v_add_f64 v[15:16], v[2:3], v[6:7]
	v_add_f64 v[2:3], v[2:3], -v[6:7]
	v_add_f64 v[0:1], v[0:1], v[4:5]
	v_mul_f64 v[6:7], v[8:9], 0.5
	v_mul_f64 v[8:9], v[15:16], 0.5
	;; [unrolled: 1-line block ×3, first 2 shown]
	s_waitcnt vmcnt(0)
	v_mul_f64 v[4:5], v[6:7], v[13:14]
	v_fma_f64 v[15:16], v[8:9], v[13:14], v[2:3]
	v_fma_f64 v[13:14], v[8:9], v[13:14], -v[2:3]
	v_fma_f64 v[17:18], v[0:1], 0.5, v[4:5]
	v_fma_f64 v[4:5], v[0:1], 0.5, -v[4:5]
	v_fma_f64 v[2:3], -v[11:12], v[6:7], v[15:16]
	v_fma_f64 v[6:7], -v[11:12], v[6:7], v[13:14]
	v_fma_f64 v[0:1], v[8:9], v[11:12], v[17:18]
	v_fma_f64 v[4:5], -v[8:9], v[11:12], v[4:5]
	ds_write_b128 v141, v[0:3]
	ds_write_b128 v10, v[4:7] offset:3328
	s_and_saveexec_b32 s1, s0
	s_cbranch_execz .LBB0_23
; %bb.22:
	v_mov_b32_e32 v61, v62
	v_lshl_add_u32 v17, v60, 4, v140
	v_lshlrev_b64 v[0:1], 4, v[60:61]
	v_add_co_u32 v0, s0, s4, v0
	v_add_co_ci_u32_e64 v1, s0, s5, v1, s0
	global_load_dwordx4 v[0:3], v[0:1], off
	ds_read_b128 v[4:7], v17
	ds_read_b128 v[11:14], v10 offset:2912
	s_waitcnt lgkmcnt(0)
	v_add_f64 v[8:9], v[4:5], -v[11:12]
	v_add_f64 v[15:16], v[6:7], v[13:14]
	v_add_f64 v[6:7], v[6:7], -v[13:14]
	v_add_f64 v[4:5], v[4:5], v[11:12]
	v_mul_f64 v[8:9], v[8:9], 0.5
	v_mul_f64 v[13:14], v[15:16], 0.5
	;; [unrolled: 1-line block ×3, first 2 shown]
	s_waitcnt vmcnt(0)
	v_mul_f64 v[11:12], v[8:9], v[2:3]
	v_fma_f64 v[15:16], v[13:14], v[2:3], v[6:7]
	v_fma_f64 v[2:3], v[13:14], v[2:3], -v[6:7]
	v_fma_f64 v[6:7], v[4:5], 0.5, v[11:12]
	v_fma_f64 v[11:12], v[4:5], 0.5, -v[11:12]
	v_fma_f64 v[4:5], -v[0:1], v[8:9], v[15:16]
	v_fma_f64 v[8:9], -v[0:1], v[8:9], v[2:3]
	v_fma_f64 v[2:3], v[13:14], v[0:1], v[6:7]
	v_fma_f64 v[6:7], -v[13:14], v[0:1], v[11:12]
	ds_write_b128 v17, v[2:5]
	ds_write_b128 v10, v[6:9] offset:2912
.LBB0_23:
	s_or_b32 exec_lo, exec_lo, s1
	s_waitcnt lgkmcnt(0)
	s_barrier
	buffer_gl0_inv
	s_and_saveexec_b32 s0, vcc_lo
	s_cbranch_execz .LBB0_26
; %bb.24:
	ds_read_b128 v[2:5], v139
	v_mov_b32_e32 v57, 0
	v_add_co_u32 v0, vcc_lo, s2, v58
	v_add_co_ci_u32_e32 v1, vcc_lo, s3, v59, vcc_lo
	v_lshlrev_b64 v[30:31], 4, v[56:57]
	ds_read_b128 v[6:9], v139 offset:416
	ds_read_b128 v[10:13], v139 offset:832
	;; [unrolled: 1-line block ×6, first 2 shown]
	v_add_co_u32 v50, vcc_lo, v0, v30
	v_add_co_ci_u32_e32 v51, vcc_lo, v1, v31, vcc_lo
	ds_read_b128 v[30:33], v139 offset:2912
	ds_read_b128 v[34:37], v139 offset:3328
	;; [unrolled: 1-line block ×3, first 2 shown]
	v_add_co_u32 v52, vcc_lo, 0x800, v50
	v_add_co_ci_u32_e32 v53, vcc_lo, 0, v51, vcc_lo
	s_waitcnt lgkmcnt(9)
	global_store_dwordx4 v[50:51], v[2:5], off
	ds_read_b128 v[2:5], v139 offset:4160
	ds_read_b128 v[42:45], v139 offset:4576
	;; [unrolled: 1-line block ×3, first 2 shown]
	s_waitcnt lgkmcnt(11)
	global_store_dwordx4 v[50:51], v[6:9], off offset:416
	s_waitcnt lgkmcnt(10)
	global_store_dwordx4 v[50:51], v[10:13], off offset:832
	s_waitcnt lgkmcnt(9)
	global_store_dwordx4 v[50:51], v[14:17], off offset:1248
	s_waitcnt lgkmcnt(8)
	global_store_dwordx4 v[50:51], v[18:21], off offset:1664
	s_waitcnt lgkmcnt(7)
	global_store_dwordx4 v[52:53], v[22:25], off offset:32
	s_waitcnt lgkmcnt(6)
	global_store_dwordx4 v[52:53], v[26:29], off offset:448
	v_add_co_u32 v6, vcc_lo, 0x1000, v50
	v_add_co_ci_u32_e32 v7, vcc_lo, 0, v51, vcc_lo
	v_cmp_eq_u32_e32 vcc_lo, 25, v56
	s_waitcnt lgkmcnt(5)
	global_store_dwordx4 v[52:53], v[30:33], off offset:864
	s_waitcnt lgkmcnt(4)
	global_store_dwordx4 v[52:53], v[34:37], off offset:1280
	;; [unrolled: 2-line block ×6, first 2 shown]
	s_and_b32 exec_lo, exec_lo, vcc_lo
	s_cbranch_execz .LBB0_26
; %bb.25:
	ds_read_b128 v[2:5], v139 offset:5008
	v_add_co_u32 v0, vcc_lo, 0x1000, v0
	v_add_co_ci_u32_e32 v1, vcc_lo, 0, v1, vcc_lo
	s_waitcnt lgkmcnt(0)
	global_store_dwordx4 v[0:1], v[2:5], off offset:1312
.LBB0_26:
	s_endpgm
	.section	.rodata,"a",@progbits
	.p2align	6, 0x0
	.amdhsa_kernel fft_rtc_back_len338_factors_13_2_13_wgs_52_tpt_26_halfLds_dp_ip_CI_unitstride_sbrr_R2C_dirReg
		.amdhsa_group_segment_fixed_size 0
		.amdhsa_private_segment_fixed_size 0
		.amdhsa_kernarg_size 88
		.amdhsa_user_sgpr_count 6
		.amdhsa_user_sgpr_private_segment_buffer 1
		.amdhsa_user_sgpr_dispatch_ptr 0
		.amdhsa_user_sgpr_queue_ptr 0
		.amdhsa_user_sgpr_kernarg_segment_ptr 1
		.amdhsa_user_sgpr_dispatch_id 0
		.amdhsa_user_sgpr_flat_scratch_init 0
		.amdhsa_user_sgpr_private_segment_size 0
		.amdhsa_wavefront_size32 1
		.amdhsa_uses_dynamic_stack 0
		.amdhsa_system_sgpr_private_segment_wavefront_offset 0
		.amdhsa_system_sgpr_workgroup_id_x 1
		.amdhsa_system_sgpr_workgroup_id_y 0
		.amdhsa_system_sgpr_workgroup_id_z 0
		.amdhsa_system_sgpr_workgroup_info 0
		.amdhsa_system_vgpr_workitem_id 0
		.amdhsa_next_free_vgpr 187
		.amdhsa_next_free_sgpr 44
		.amdhsa_reserve_vcc 1
		.amdhsa_reserve_flat_scratch 0
		.amdhsa_float_round_mode_32 0
		.amdhsa_float_round_mode_16_64 0
		.amdhsa_float_denorm_mode_32 3
		.amdhsa_float_denorm_mode_16_64 3
		.amdhsa_dx10_clamp 1
		.amdhsa_ieee_mode 1
		.amdhsa_fp16_overflow 0
		.amdhsa_workgroup_processor_mode 1
		.amdhsa_memory_ordered 1
		.amdhsa_forward_progress 0
		.amdhsa_shared_vgpr_count 0
		.amdhsa_exception_fp_ieee_invalid_op 0
		.amdhsa_exception_fp_denorm_src 0
		.amdhsa_exception_fp_ieee_div_zero 0
		.amdhsa_exception_fp_ieee_overflow 0
		.amdhsa_exception_fp_ieee_underflow 0
		.amdhsa_exception_fp_ieee_inexact 0
		.amdhsa_exception_int_div_zero 0
	.end_amdhsa_kernel
	.text
.Lfunc_end0:
	.size	fft_rtc_back_len338_factors_13_2_13_wgs_52_tpt_26_halfLds_dp_ip_CI_unitstride_sbrr_R2C_dirReg, .Lfunc_end0-fft_rtc_back_len338_factors_13_2_13_wgs_52_tpt_26_halfLds_dp_ip_CI_unitstride_sbrr_R2C_dirReg
                                        ; -- End function
	.section	.AMDGPU.csdata,"",@progbits
; Kernel info:
; codeLenInByte = 13136
; NumSgprs: 46
; NumVgprs: 187
; ScratchSize: 0
; MemoryBound: 0
; FloatMode: 240
; IeeeMode: 1
; LDSByteSize: 0 bytes/workgroup (compile time only)
; SGPRBlocks: 5
; VGPRBlocks: 23
; NumSGPRsForWavesPerEU: 46
; NumVGPRsForWavesPerEU: 187
; Occupancy: 5
; WaveLimiterHint : 1
; COMPUTE_PGM_RSRC2:SCRATCH_EN: 0
; COMPUTE_PGM_RSRC2:USER_SGPR: 6
; COMPUTE_PGM_RSRC2:TRAP_HANDLER: 0
; COMPUTE_PGM_RSRC2:TGID_X_EN: 1
; COMPUTE_PGM_RSRC2:TGID_Y_EN: 0
; COMPUTE_PGM_RSRC2:TGID_Z_EN: 0
; COMPUTE_PGM_RSRC2:TIDIG_COMP_CNT: 0
	.text
	.p2alignl 6, 3214868480
	.fill 48, 4, 3214868480
	.type	__hip_cuid_6b9ebb367675d998,@object ; @__hip_cuid_6b9ebb367675d998
	.section	.bss,"aw",@nobits
	.globl	__hip_cuid_6b9ebb367675d998
__hip_cuid_6b9ebb367675d998:
	.byte	0                               ; 0x0
	.size	__hip_cuid_6b9ebb367675d998, 1

	.ident	"AMD clang version 19.0.0git (https://github.com/RadeonOpenCompute/llvm-project roc-6.4.0 25133 c7fe45cf4b819c5991fe208aaa96edf142730f1d)"
	.section	".note.GNU-stack","",@progbits
	.addrsig
	.addrsig_sym __hip_cuid_6b9ebb367675d998
	.amdgpu_metadata
---
amdhsa.kernels:
  - .args:
      - .actual_access:  read_only
        .address_space:  global
        .offset:         0
        .size:           8
        .value_kind:     global_buffer
      - .offset:         8
        .size:           8
        .value_kind:     by_value
      - .actual_access:  read_only
        .address_space:  global
        .offset:         16
        .size:           8
        .value_kind:     global_buffer
      - .actual_access:  read_only
        .address_space:  global
        .offset:         24
        .size:           8
        .value_kind:     global_buffer
      - .offset:         32
        .size:           8
        .value_kind:     by_value
      - .actual_access:  read_only
        .address_space:  global
        .offset:         40
        .size:           8
        .value_kind:     global_buffer
      - .actual_access:  read_only
        .address_space:  global
        .offset:         48
        .size:           8
        .value_kind:     global_buffer
      - .offset:         56
        .size:           4
        .value_kind:     by_value
      - .actual_access:  read_only
        .address_space:  global
        .offset:         64
        .size:           8
        .value_kind:     global_buffer
      - .actual_access:  read_only
        .address_space:  global
        .offset:         72
        .size:           8
        .value_kind:     global_buffer
      - .address_space:  global
        .offset:         80
        .size:           8
        .value_kind:     global_buffer
    .group_segment_fixed_size: 0
    .kernarg_segment_align: 8
    .kernarg_segment_size: 88
    .language:       OpenCL C
    .language_version:
      - 2
      - 0
    .max_flat_workgroup_size: 52
    .name:           fft_rtc_back_len338_factors_13_2_13_wgs_52_tpt_26_halfLds_dp_ip_CI_unitstride_sbrr_R2C_dirReg
    .private_segment_fixed_size: 0
    .sgpr_count:     46
    .sgpr_spill_count: 0
    .symbol:         fft_rtc_back_len338_factors_13_2_13_wgs_52_tpt_26_halfLds_dp_ip_CI_unitstride_sbrr_R2C_dirReg.kd
    .uniform_work_group_size: 1
    .uses_dynamic_stack: false
    .vgpr_count:     187
    .vgpr_spill_count: 0
    .wavefront_size: 32
    .workgroup_processor_mode: 1
amdhsa.target:   amdgcn-amd-amdhsa--gfx1030
amdhsa.version:
  - 1
  - 2
...

	.end_amdgpu_metadata
